;; amdgpu-corpus repo=LLNL/RAJAPerf kind=compiled arch=gfx1201 opt=O3
	.amdgcn_target "amdgcn-amd-amdhsa--gfx1201"
	.amdhsa_code_object_version 6
	.section	.text._ZN8rajaperf5lcals9first_minILm256EEEvPdP8MyMinLocS3_l,"axG",@progbits,_ZN8rajaperf5lcals9first_minILm256EEEvPdP8MyMinLocS3_l,comdat
	.protected	_ZN8rajaperf5lcals9first_minILm256EEEvPdP8MyMinLocS3_l ; -- Begin function _ZN8rajaperf5lcals9first_minILm256EEEvPdP8MyMinLocS3_l
	.globl	_ZN8rajaperf5lcals9first_minILm256EEEvPdP8MyMinLocS3_l
	.p2align	8
	.type	_ZN8rajaperf5lcals9first_minILm256EEEvPdP8MyMinLocS3_l,@function
_ZN8rajaperf5lcals9first_minILm256EEEvPdP8MyMinLocS3_l: ; @_ZN8rajaperf5lcals9first_minILm256EEEvPdP8MyMinLocS3_l
; %bb.0:
	s_clause 0x1
	s_load_b256 s[4:11], s[0:1], 0x0
	s_load_b64 s[12:13], s[0:1], 0x20
	s_mov_b32 s2, ttmp9
	s_mov_b32 s3, 0
	v_lshl_add_u32 v9, v0, 4, 0
	s_lshl_b64 s[14:15], s[2:3], 8
	s_delay_alu instid0(SALU_CYCLE_1)
	v_mov_b32_e32 v2, s15
	v_or_b32_e32 v1, s14, v0
	s_wait_kmcnt 0x0
	v_dual_mov_b32 v3, s8 :: v_dual_mov_b32 v4, s9
	v_dual_mov_b32 v5, s10 :: v_dual_mov_b32 v6, s11
	s_mov_b32 s10, exec_lo
	ds_store_2addr_b64 v9, v[3:4], v[5:6] offset1:1
	v_cmpx_gt_i64_e64 s[12:13], v[1:2]
	s_cbranch_execz .LBB0_5
; %bb.1:
	s_load_b32 s0, s[0:1], 0x28
	ds_load_b64 v[5:6], v9
	v_lshlrev_b32_e32 v3, 3, v0
	s_lshl_b64 s[8:9], s[2:3], 11
	s_mov_b32 s1, s3
	s_wait_alu 0xfffe
	s_add_nc_u64 s[4:5], s[4:5], s[8:9]
	s_delay_alu instid0(SALU_CYCLE_1)
	v_add_co_u32 v3, s4, s4, v3
	s_wait_alu 0xf1ff
	v_add_co_ci_u32_e64 v4, null, s5, 0, s4
	s_wait_kmcnt 0x0
	s_lshl_b64 s[4:5], s[0:1], 8
	s_lshl_b64 s[8:9], s[0:1], 11
	s_branch .LBB0_3
.LBB0_2:                                ;   in Loop: Header=BB0_3 Depth=1
	s_wait_alu 0xfffe
	s_or_b32 exec_lo, exec_lo, s0
	v_add_co_u32 v1, vcc_lo, v1, s4
	s_wait_alu 0xfffd
	v_add_co_ci_u32_e64 v2, null, s5, v2, vcc_lo
	v_add_co_u32 v3, s0, v3, s8
	s_wait_alu 0xf1ff
	v_add_co_ci_u32_e64 v4, null, s9, v4, s0
	s_delay_alu instid0(VALU_DEP_3)
	v_cmp_le_i64_e32 vcc_lo, s[12:13], v[1:2]
	s_or_b32 s1, vcc_lo, s1
	s_wait_alu 0xfffe
	s_and_not1_b32 exec_lo, exec_lo, s1
	s_cbranch_execz .LBB0_5
.LBB0_3:                                ; =>This Inner Loop Header: Depth=1
	global_load_b64 v[7:8], v[3:4], off
	s_mov_b32 s0, exec_lo
	s_wait_loadcnt_dscnt 0x0
	v_cmpx_lt_f64_e32 v[7:8], v[5:6]
	s_cbranch_execz .LBB0_2
; %bb.4:                                ;   in Loop: Header=BB0_3 Depth=1
	v_dual_mov_b32 v5, v7 :: v_dual_mov_b32 v6, v8
	ds_store_2addr_b64 v9, v[7:8], v[1:2] offset1:1
	s_branch .LBB0_2
.LBB0_5:
	s_wait_alu 0xfffe
	s_or_b32 exec_lo, exec_lo, s10
	s_delay_alu instid0(SALU_CYCLE_1)
	s_mov_b32 s0, exec_lo
	s_wait_dscnt 0x0
	s_barrier_signal -1
	s_barrier_wait -1
	global_inv scope:SCOPE_SE
	v_cmpx_gt_u32_e32 0x80, v0
	s_cbranch_execz .LBB0_8
; %bb.6:
	ds_load_2addr_stride64_b64 v[1:4], v9 offset1:4
	s_wait_dscnt 0x0
	v_cmp_lt_f64_e32 vcc_lo, v[3:4], v[1:2]
	s_and_b32 exec_lo, exec_lo, vcc_lo
	s_cbranch_execz .LBB0_8
; %bb.7:
	v_add_nc_u32_e32 v1, 0x800, v9
	ds_load_2addr_b64 v[1:4], v1 offset1:1
	s_wait_dscnt 0x0
	ds_store_2addr_b64 v9, v[1:2], v[3:4] offset1:1
.LBB0_8:
	s_wait_alu 0xfffe
	s_or_b32 exec_lo, exec_lo, s0
	s_delay_alu instid0(SALU_CYCLE_1)
	s_mov_b32 s0, exec_lo
	s_wait_loadcnt_dscnt 0x0
	s_barrier_signal -1
	s_barrier_wait -1
	global_inv scope:SCOPE_SE
	v_cmpx_gt_u32_e32 64, v0
	s_cbranch_execz .LBB0_11
; %bb.9:
	ds_load_2addr_stride64_b64 v[1:4], v9 offset1:2
	s_wait_dscnt 0x0
	v_cmp_lt_f64_e32 vcc_lo, v[3:4], v[1:2]
	s_and_b32 exec_lo, exec_lo, vcc_lo
	s_cbranch_execz .LBB0_11
; %bb.10:
	v_add_nc_u32_e32 v1, 0x400, v9
	ds_load_2addr_b64 v[1:4], v1 offset1:1
	s_wait_dscnt 0x0
	ds_store_2addr_b64 v9, v[1:2], v[3:4] offset1:1
.LBB0_11:
	s_wait_alu 0xfffe
	s_or_b32 exec_lo, exec_lo, s0
	s_delay_alu instid0(SALU_CYCLE_1)
	s_mov_b32 s0, exec_lo
	s_wait_loadcnt_dscnt 0x0
	;; [unrolled: 22-line block ×3, first 2 shown]
	s_barrier_signal -1
	s_barrier_wait -1
	global_inv scope:SCOPE_SE
	v_cmpx_gt_u32_e32 16, v0
	s_cbranch_execz .LBB0_17
; %bb.15:
	ds_load_2addr_b64 v[1:4], v9 offset1:32
	s_wait_dscnt 0x0
	v_cmp_lt_f64_e32 vcc_lo, v[3:4], v[1:2]
	s_and_b32 exec_lo, exec_lo, vcc_lo
	s_cbranch_execz .LBB0_17
; %bb.16:
	v_add_nc_u32_e32 v1, 0x100, v9
	ds_load_2addr_b64 v[1:4], v1 offset1:1
	s_wait_dscnt 0x0
	ds_store_2addr_b64 v9, v[1:2], v[3:4] offset1:1
.LBB0_17:
	s_wait_alu 0xfffe
	s_or_b32 exec_lo, exec_lo, s0
	s_delay_alu instid0(SALU_CYCLE_1)
	s_mov_b32 s0, exec_lo
	s_wait_loadcnt_dscnt 0x0
	s_barrier_signal -1
	s_barrier_wait -1
	global_inv scope:SCOPE_SE
	v_cmpx_gt_u32_e32 8, v0
	s_cbranch_execz .LBB0_20
; %bb.18:
	ds_load_2addr_b64 v[1:4], v9 offset1:16
	s_wait_dscnt 0x0
	v_cmp_lt_f64_e32 vcc_lo, v[3:4], v[1:2]
	s_and_b32 exec_lo, exec_lo, vcc_lo
	s_cbranch_execz .LBB0_20
; %bb.19:
	v_add_nc_u32_e32 v1, 0x80, v9
	ds_load_2addr_b64 v[1:4], v1 offset1:1
	s_wait_dscnt 0x0
	ds_store_2addr_b64 v9, v[1:2], v[3:4] offset1:1
.LBB0_20:
	s_wait_alu 0xfffe
	s_or_b32 exec_lo, exec_lo, s0
	s_delay_alu instid0(SALU_CYCLE_1)
	s_mov_b32 s0, exec_lo
	s_wait_loadcnt_dscnt 0x0
	;; [unrolled: 22-line block ×3, first 2 shown]
	s_barrier_signal -1
	s_barrier_wait -1
	global_inv scope:SCOPE_SE
	v_cmpx_gt_u32_e32 2, v0
	s_cbranch_execz .LBB0_26
; %bb.24:
	ds_load_2addr_b64 v[1:4], v9 offset1:4
	s_wait_dscnt 0x0
	v_cmp_lt_f64_e32 vcc_lo, v[3:4], v[1:2]
	s_and_b32 exec_lo, exec_lo, vcc_lo
	s_cbranch_execz .LBB0_26
; %bb.25:
	v_add_nc_u32_e32 v1, 32, v9
	ds_load_2addr_b64 v[1:4], v1 offset1:1
	s_wait_dscnt 0x0
	ds_store_2addr_b64 v9, v[1:2], v[3:4] offset1:1
.LBB0_26:
	s_wait_alu 0xfffe
	s_or_b32 exec_lo, exec_lo, s0
	v_cmp_eq_u32_e32 vcc_lo, 0, v0
	s_wait_loadcnt_dscnt 0x0
	s_barrier_signal -1
	s_barrier_wait -1
	global_inv scope:SCOPE_SE
	s_and_saveexec_b32 s1, vcc_lo
	s_cbranch_execz .LBB0_29
; %bb.27:
	ds_load_2addr_b64 v[0:3], v9 offset1:2
	s_wait_dscnt 0x0
	v_cmp_lt_f64_e64 s0, v[2:3], v[0:1]
	s_and_b32 exec_lo, exec_lo, s0
	s_cbranch_execz .LBB0_29
; %bb.28:
	v_add_nc_u32_e32 v0, 16, v9
	ds_load_2addr_b64 v[0:3], v0 offset1:1
	s_wait_dscnt 0x0
	ds_store_2addr_b64 v9, v[0:1], v[2:3] offset1:1
.LBB0_29:
	s_wait_alu 0xfffe
	s_or_b32 exec_lo, exec_lo, s1
	s_wait_loadcnt_dscnt 0x0
	s_barrier_signal -1
	s_barrier_wait -1
	global_inv scope:SCOPE_SE
	s_and_saveexec_b32 s0, vcc_lo
	s_cbranch_execz .LBB0_31
; %bb.30:
	v_mov_b32_e32 v4, 0
	s_lshl_b64 s[0:1], s[2:3], 4
	s_wait_alu 0xfffe
	s_add_nc_u64 s[0:1], s[6:7], s[0:1]
	ds_load_2addr_b64 v[0:3], v4 offset1:1
	s_wait_dscnt 0x0
	global_store_b128 v4, v[0:3], s[0:1]
.LBB0_31:
	s_endpgm
	.section	.rodata,"a",@progbits
	.p2align	6, 0x0
	.amdhsa_kernel _ZN8rajaperf5lcals9first_minILm256EEEvPdP8MyMinLocS3_l
		.amdhsa_group_segment_fixed_size 0
		.amdhsa_private_segment_fixed_size 0
		.amdhsa_kernarg_size 296
		.amdhsa_user_sgpr_count 2
		.amdhsa_user_sgpr_dispatch_ptr 0
		.amdhsa_user_sgpr_queue_ptr 0
		.amdhsa_user_sgpr_kernarg_segment_ptr 1
		.amdhsa_user_sgpr_dispatch_id 0
		.amdhsa_user_sgpr_private_segment_size 0
		.amdhsa_wavefront_size32 1
		.amdhsa_uses_dynamic_stack 0
		.amdhsa_enable_private_segment 0
		.amdhsa_system_sgpr_workgroup_id_x 1
		.amdhsa_system_sgpr_workgroup_id_y 0
		.amdhsa_system_sgpr_workgroup_id_z 0
		.amdhsa_system_sgpr_workgroup_info 0
		.amdhsa_system_vgpr_workitem_id 0
		.amdhsa_next_free_vgpr 10
		.amdhsa_next_free_sgpr 16
		.amdhsa_reserve_vcc 1
		.amdhsa_float_round_mode_32 0
		.amdhsa_float_round_mode_16_64 0
		.amdhsa_float_denorm_mode_32 3
		.amdhsa_float_denorm_mode_16_64 3
		.amdhsa_fp16_overflow 0
		.amdhsa_workgroup_processor_mode 1
		.amdhsa_memory_ordered 1
		.amdhsa_forward_progress 1
		.amdhsa_inst_pref_size 10
		.amdhsa_round_robin_scheduling 0
		.amdhsa_exception_fp_ieee_invalid_op 0
		.amdhsa_exception_fp_denorm_src 0
		.amdhsa_exception_fp_ieee_div_zero 0
		.amdhsa_exception_fp_ieee_overflow 0
		.amdhsa_exception_fp_ieee_underflow 0
		.amdhsa_exception_fp_ieee_inexact 0
		.amdhsa_exception_int_div_zero 0
	.end_amdhsa_kernel
	.section	.text._ZN8rajaperf5lcals9first_minILm256EEEvPdP8MyMinLocS3_l,"axG",@progbits,_ZN8rajaperf5lcals9first_minILm256EEEvPdP8MyMinLocS3_l,comdat
.Lfunc_end0:
	.size	_ZN8rajaperf5lcals9first_minILm256EEEvPdP8MyMinLocS3_l, .Lfunc_end0-_ZN8rajaperf5lcals9first_minILm256EEEvPdP8MyMinLocS3_l
                                        ; -- End function
	.set _ZN8rajaperf5lcals9first_minILm256EEEvPdP8MyMinLocS3_l.num_vgpr, 10
	.set _ZN8rajaperf5lcals9first_minILm256EEEvPdP8MyMinLocS3_l.num_agpr, 0
	.set _ZN8rajaperf5lcals9first_minILm256EEEvPdP8MyMinLocS3_l.numbered_sgpr, 16
	.set _ZN8rajaperf5lcals9first_minILm256EEEvPdP8MyMinLocS3_l.num_named_barrier, 0
	.set _ZN8rajaperf5lcals9first_minILm256EEEvPdP8MyMinLocS3_l.private_seg_size, 0
	.set _ZN8rajaperf5lcals9first_minILm256EEEvPdP8MyMinLocS3_l.uses_vcc, 1
	.set _ZN8rajaperf5lcals9first_minILm256EEEvPdP8MyMinLocS3_l.uses_flat_scratch, 0
	.set _ZN8rajaperf5lcals9first_minILm256EEEvPdP8MyMinLocS3_l.has_dyn_sized_stack, 0
	.set _ZN8rajaperf5lcals9first_minILm256EEEvPdP8MyMinLocS3_l.has_recursion, 0
	.set _ZN8rajaperf5lcals9first_minILm256EEEvPdP8MyMinLocS3_l.has_indirect_call, 0
	.section	.AMDGPU.csdata,"",@progbits
; Kernel info:
; codeLenInByte = 1168
; TotalNumSgprs: 18
; NumVgprs: 10
; ScratchSize: 0
; MemoryBound: 0
; FloatMode: 240
; IeeeMode: 1
; LDSByteSize: 0 bytes/workgroup (compile time only)
; SGPRBlocks: 0
; VGPRBlocks: 1
; NumSGPRsForWavesPerEU: 18
; NumVGPRsForWavesPerEU: 10
; Occupancy: 16
; WaveLimiterHint : 0
; COMPUTE_PGM_RSRC2:SCRATCH_EN: 0
; COMPUTE_PGM_RSRC2:USER_SGPR: 2
; COMPUTE_PGM_RSRC2:TRAP_HANDLER: 0
; COMPUTE_PGM_RSRC2:TGID_X_EN: 1
; COMPUTE_PGM_RSRC2:TGID_Y_EN: 0
; COMPUTE_PGM_RSRC2:TGID_Z_EN: 0
; COMPUTE_PGM_RSRC2:TIDIG_COMP_CNT: 0
	.section	.text._ZN4RAJA6policy3hip4impl18forallp_hip_kernelINS1_8hip_execINS_17iteration_mapping6DirectENS_3hip11IndexGlobalILNS_9named_dimE0ELi256ELi0EEENS7_40AvoidDeviceMaxThreadOccupancyConcretizerINS7_34FractionOffsetOccupancyConcretizerINS_8FractionImLm1ELm1EEELln1EEEEELb1EEENS_9Iterators16numeric_iteratorIllPlEEZN8rajaperf5lcals9FIRST_MIN17runHipVariantRAJAILm256ENSM_11gpu_mapping20global_direct_helperEEEvNSM_9VariantIDEEUllE_lNS_4expt15ForallParamPackIJEEES6_SA_TnNSt9enable_ifIXaasr3std10is_base_ofINS5_10DirectBaseET4_EE5valuegtsrT5_10block_sizeLi0EEmE4typeELm256EEEvT1_T0_T2_T3_,"axG",@progbits,_ZN4RAJA6policy3hip4impl18forallp_hip_kernelINS1_8hip_execINS_17iteration_mapping6DirectENS_3hip11IndexGlobalILNS_9named_dimE0ELi256ELi0EEENS7_40AvoidDeviceMaxThreadOccupancyConcretizerINS7_34FractionOffsetOccupancyConcretizerINS_8FractionImLm1ELm1EEELln1EEEEELb1EEENS_9Iterators16numeric_iteratorIllPlEEZN8rajaperf5lcals9FIRST_MIN17runHipVariantRAJAILm256ENSM_11gpu_mapping20global_direct_helperEEEvNSM_9VariantIDEEUllE_lNS_4expt15ForallParamPackIJEEES6_SA_TnNSt9enable_ifIXaasr3std10is_base_ofINS5_10DirectBaseET4_EE5valuegtsrT5_10block_sizeLi0EEmE4typeELm256EEEvT1_T0_T2_T3_,comdat
	.protected	_ZN4RAJA6policy3hip4impl18forallp_hip_kernelINS1_8hip_execINS_17iteration_mapping6DirectENS_3hip11IndexGlobalILNS_9named_dimE0ELi256ELi0EEENS7_40AvoidDeviceMaxThreadOccupancyConcretizerINS7_34FractionOffsetOccupancyConcretizerINS_8FractionImLm1ELm1EEELln1EEEEELb1EEENS_9Iterators16numeric_iteratorIllPlEEZN8rajaperf5lcals9FIRST_MIN17runHipVariantRAJAILm256ENSM_11gpu_mapping20global_direct_helperEEEvNSM_9VariantIDEEUllE_lNS_4expt15ForallParamPackIJEEES6_SA_TnNSt9enable_ifIXaasr3std10is_base_ofINS5_10DirectBaseET4_EE5valuegtsrT5_10block_sizeLi0EEmE4typeELm256EEEvT1_T0_T2_T3_ ; -- Begin function _ZN4RAJA6policy3hip4impl18forallp_hip_kernelINS1_8hip_execINS_17iteration_mapping6DirectENS_3hip11IndexGlobalILNS_9named_dimE0ELi256ELi0EEENS7_40AvoidDeviceMaxThreadOccupancyConcretizerINS7_34FractionOffsetOccupancyConcretizerINS_8FractionImLm1ELm1EEELln1EEEEELb1EEENS_9Iterators16numeric_iteratorIllPlEEZN8rajaperf5lcals9FIRST_MIN17runHipVariantRAJAILm256ENSM_11gpu_mapping20global_direct_helperEEEvNSM_9VariantIDEEUllE_lNS_4expt15ForallParamPackIJEEES6_SA_TnNSt9enable_ifIXaasr3std10is_base_ofINS5_10DirectBaseET4_EE5valuegtsrT5_10block_sizeLi0EEmE4typeELm256EEEvT1_T0_T2_T3_
	.globl	_ZN4RAJA6policy3hip4impl18forallp_hip_kernelINS1_8hip_execINS_17iteration_mapping6DirectENS_3hip11IndexGlobalILNS_9named_dimE0ELi256ELi0EEENS7_40AvoidDeviceMaxThreadOccupancyConcretizerINS7_34FractionOffsetOccupancyConcretizerINS_8FractionImLm1ELm1EEELln1EEEEELb1EEENS_9Iterators16numeric_iteratorIllPlEEZN8rajaperf5lcals9FIRST_MIN17runHipVariantRAJAILm256ENSM_11gpu_mapping20global_direct_helperEEEvNSM_9VariantIDEEUllE_lNS_4expt15ForallParamPackIJEEES6_SA_TnNSt9enable_ifIXaasr3std10is_base_ofINS5_10DirectBaseET4_EE5valuegtsrT5_10block_sizeLi0EEmE4typeELm256EEEvT1_T0_T2_T3_
	.p2align	8
	.type	_ZN4RAJA6policy3hip4impl18forallp_hip_kernelINS1_8hip_execINS_17iteration_mapping6DirectENS_3hip11IndexGlobalILNS_9named_dimE0ELi256ELi0EEENS7_40AvoidDeviceMaxThreadOccupancyConcretizerINS7_34FractionOffsetOccupancyConcretizerINS_8FractionImLm1ELm1EEELln1EEEEELb1EEENS_9Iterators16numeric_iteratorIllPlEEZN8rajaperf5lcals9FIRST_MIN17runHipVariantRAJAILm256ENSM_11gpu_mapping20global_direct_helperEEEvNSM_9VariantIDEEUllE_lNS_4expt15ForallParamPackIJEEES6_SA_TnNSt9enable_ifIXaasr3std10is_base_ofINS5_10DirectBaseET4_EE5valuegtsrT5_10block_sizeLi0EEmE4typeELm256EEEvT1_T0_T2_T3_,@function
_ZN4RAJA6policy3hip4impl18forallp_hip_kernelINS1_8hip_execINS_17iteration_mapping6DirectENS_3hip11IndexGlobalILNS_9named_dimE0ELi256ELi0EEENS7_40AvoidDeviceMaxThreadOccupancyConcretizerINS7_34FractionOffsetOccupancyConcretizerINS_8FractionImLm1ELm1EEELln1EEEEELb1EEENS_9Iterators16numeric_iteratorIllPlEEZN8rajaperf5lcals9FIRST_MIN17runHipVariantRAJAILm256ENSM_11gpu_mapping20global_direct_helperEEEvNSM_9VariantIDEEUllE_lNS_4expt15ForallParamPackIJEEES6_SA_TnNSt9enable_ifIXaasr3std10is_base_ofINS5_10DirectBaseET4_EE5valuegtsrT5_10block_sizeLi0EEmE4typeELm256EEEvT1_T0_T2_T3_: ; @_ZN4RAJA6policy3hip4impl18forallp_hip_kernelINS1_8hip_execINS_17iteration_mapping6DirectENS_3hip11IndexGlobalILNS_9named_dimE0ELi256ELi0EEENS7_40AvoidDeviceMaxThreadOccupancyConcretizerINS7_34FractionOffsetOccupancyConcretizerINS_8FractionImLm1ELm1EEELln1EEEEELb1EEENS_9Iterators16numeric_iteratorIllPlEEZN8rajaperf5lcals9FIRST_MIN17runHipVariantRAJAILm256ENSM_11gpu_mapping20global_direct_helperEEEvNSM_9VariantIDEEUllE_lNS_4expt15ForallParamPackIJEEES6_SA_TnNSt9enable_ifIXaasr3std10is_base_ofINS5_10DirectBaseET4_EE5valuegtsrT5_10block_sizeLi0EEmE4typeELm256EEEvT1_T0_T2_T3_
; %bb.0:
	s_clause 0x2
	s_load_b128 s[16:19], s[0:1], 0x58
	s_load_b256 s[8:15], s[0:1], 0x20
	s_load_b128 s[4:7], s[0:1], 0x0
	s_mov_b32 s2, ttmp9
	s_mov_b32 s3, 0
	s_delay_alu instid0(SALU_CYCLE_1) | instskip(NEXT) | instid1(SALU_CYCLE_1)
	s_lshl_b64 s[2:3], s[2:3], 8
	v_dual_mov_b32 v2, s3 :: v_dual_and_b32 v3, 0x3ff, v0
	s_delay_alu instid0(VALU_DEP_1)
	v_or_b32_e32 v1, s2, v3
	s_mov_b32 s2, exec_lo
	s_wait_kmcnt 0x0
	v_dual_mov_b32 v4, s8 :: v_dual_mov_b32 v5, s9
	v_dual_mov_b32 v6, s10 :: v_dual_mov_b32 v7, s11
	v_cmpx_gt_i64_e64 s[18:19], v[1:2]
	s_cbranch_execz .LBB1_2
; %bb.1:
	s_load_b64 s[18:19], s[0:1], 0x50
	v_add_co_u32 v1, vcc_lo, v1, s16
	s_delay_alu instid0(VALU_DEP_1) | instskip(NEXT) | instid1(VALU_DEP_1)
	v_add_co_ci_u32_e64 v2, null, s17, v2, vcc_lo
	v_lshlrev_b64_e32 v[4:5], 3, v[1:2]
	s_wait_kmcnt 0x0
	s_delay_alu instid0(VALU_DEP_1) | instskip(SKIP_1) | instid1(VALU_DEP_2)
	v_add_co_u32 v4, vcc_lo, s18, v4
	s_wait_alu 0xfffd
	v_add_co_ci_u32_e64 v5, null, s19, v5, vcc_lo
	global_load_b64 v[4:5], v[4:5], off
	s_wait_loadcnt 0x0
	v_cmp_gt_f64_e32 vcc_lo, s[8:9], v[4:5]
	s_wait_alu 0xfffd
	v_cndmask_b32_e32 v5, s9, v5, vcc_lo
	v_cndmask_b32_e32 v4, s8, v4, vcc_lo
	;; [unrolled: 1-line block ×4, first 2 shown]
.LBB1_2:
	s_wait_alu 0xfffe
	s_or_b32 exec_lo, exec_lo, s2
	s_cmp_lg_u64 s[4:5], 0
	s_cbranch_scc0 .LBB1_4
.LBB1_3:
	s_endpgm
.LBB1_4:
	v_mov_b32_e32 v1, 0
	s_load_b96 s[16:18], s[0:1], 0x70
	s_add_nc_u64 s[2:3], s[0:1], 0x70
	s_mov_b32 s5, 0
	global_load_b32 v1, v1, s[0:1] offset:126
	s_wait_kmcnt 0x0
	s_cmp_lt_u32 ttmp9, s16
	s_cselect_b32 s4, 12, 18
	s_wait_alu 0xfffe
	s_add_nc_u64 s[2:3], s[2:3], s[4:5]
	s_load_b64 s[4:5], s[0:1], 0x40
	s_load_u16 s2, s[2:3], 0x0
	s_wait_loadcnt 0x0
	v_readfirstlane_b32 s3, v1
	v_bfe_u32 v1, v0, 20, 10
	v_bfe_u32 v0, v0, 10, 10
	s_and_b32 s0, s3, 0xffff
	s_lshr_b32 s1, s3, 16
	s_wait_kmcnt 0x0
	s_mul_i32 s0, s0, s2
	v_mul_u32_u24_e32 v0, s2, v0
	v_mul_lo_u32 v1, s0, v1
	s_mul_i32 s20, s0, s1
	s_delay_alu instid0(SALU_CYCLE_1) | instskip(SKIP_4) | instid1(VALU_DEP_1)
	s_and_b32 s0, s20, 63
	s_ashr_i32 s21, s20, 31
	s_wait_alu 0xfffe
	s_cmp_lg_u32 s0, 0
	s_cselect_b32 s19, -1, 0
	v_add3_u32 v24, v0, v3, v1
	s_cmp_eq_u32 s0, 0
	s_mov_b32 s0, -1
	s_cbranch_scc1 .LBB1_66
; %bb.5:
	s_delay_alu instid0(VALU_DEP_1) | instskip(SKIP_3) | instid1(VALU_DEP_4)
	v_xor_b32_e32 v0, 1, v24
	v_mov_b32_e32 v11, v5
	v_mov_b32_e32 v9, v7
	v_dual_mov_b32 v3, v7 :: v_dual_mov_b32 v8, v6
	v_dual_mov_b32 v2, v6 :: v_dual_and_b32 v1, 31, v0
	v_cmp_gt_i32_e32 vcc_lo, s20, v0
	v_mov_b32_e32 v0, v4
	s_delay_alu instid0(VALU_DEP_3)
	v_dual_mov_b32 v10, v4 :: v_dual_lshlrev_b32 v1, 2, v1
	ds_bpermute_b32 v12, v1, v4
	ds_bpermute_b32 v13, v1, v5
	;; [unrolled: 1-line block ×4, first 2 shown]
	v_mov_b32_e32 v1, v5
	s_and_saveexec_b32 s0, vcc_lo
	s_cbranch_execz .LBB1_7
; %bb.6:
	s_wait_dscnt 0x2
	v_and_b32_e32 v0, 0xff, v13
	v_and_b32_e32 v1, 0xffffff00, v13
	s_delay_alu instid0(VALU_DEP_1) | instskip(NEXT) | instid1(VALU_DEP_1)
	v_or_b32_e32 v13, v0, v1
	v_cmp_gt_f64_e32 vcc_lo, v[4:5], v[12:13]
	s_wait_dscnt 0x0
	v_and_b32_e32 v0, 0xff, v15
	s_wait_alu 0xfffd
	v_dual_cndmask_b32 v10, v4, v12 :: v_dual_and_b32 v1, 0xffffff00, v15
	v_cndmask_b32_e32 v11, v5, v13, vcc_lo
	s_delay_alu instid0(VALU_DEP_2) | instskip(NEXT) | instid1(VALU_DEP_2)
	v_or_b32_e32 v0, v0, v1
	v_dual_cndmask_b32 v2, v6, v14 :: v_dual_mov_b32 v1, v11
	s_delay_alu instid0(VALU_DEP_2) | instskip(NEXT) | instid1(VALU_DEP_1)
	v_dual_cndmask_b32 v3, v7, v0 :: v_dual_mov_b32 v0, v10
	v_dual_mov_b32 v9, v3 :: v_dual_mov_b32 v8, v2
.LBB1_7:
	s_wait_alu 0xfffe
	s_or_b32 exec_lo, exec_lo, s0
	s_wait_dscnt 0x1
	v_xor_b32_e32 v14, 2, v24
	s_mov_b32 s0, exec_lo
	s_delay_alu instid0(VALU_DEP_1) | instskip(SKIP_1) | instid1(VALU_DEP_1)
	v_and_b32_e32 v12, 31, v14
	s_wait_dscnt 0x0
	v_lshlrev_b32_e32 v15, 2, v12
	ds_bpermute_b32 v12, v15, v0
	ds_bpermute_b32 v13, v15, v1
	ds_bpermute_b32 v2, v15, v2
	ds_bpermute_b32 v3, v15, v3
	v_cmpx_gt_i32_e64 s20, v14
	s_cbranch_execz .LBB1_9
; %bb.8:
	s_wait_dscnt 0x2
	v_and_b32_e32 v0, 0xff, v13
	v_and_b32_e32 v1, 0xffffff00, v13
	s_delay_alu instid0(VALU_DEP_1) | instskip(NEXT) | instid1(VALU_DEP_1)
	v_or_b32_e32 v13, v0, v1
	v_cmp_gt_f64_e32 vcc_lo, v[10:11], v[12:13]
	s_wait_dscnt 0x0
	v_and_b32_e32 v0, 0xff, v3
	s_wait_alu 0xfffd
	v_dual_cndmask_b32 v8, v8, v2 :: v_dual_and_b32 v1, 0xffffff00, v3
	v_cndmask_b32_e32 v11, v11, v13, vcc_lo
	s_delay_alu instid0(VALU_DEP_2) | instskip(NEXT) | instid1(VALU_DEP_2)
	v_or_b32_e32 v0, v0, v1
	v_dual_cndmask_b32 v10, v10, v12 :: v_dual_mov_b32 v1, v11
	s_delay_alu instid0(VALU_DEP_1)
	v_dual_cndmask_b32 v9, v9, v0 :: v_dual_mov_b32 v0, v10
.LBB1_9:
	s_wait_alu 0xfffe
	s_or_b32 exec_lo, exec_lo, s0
	v_xor_b32_e32 v14, 4, v24
	s_mov_b32 s0, exec_lo
	s_wait_dscnt 0x1
	s_delay_alu instid0(VALU_DEP_1) | instskip(NEXT) | instid1(VALU_DEP_1)
	v_and_b32_e32 v2, 31, v14
	v_lshlrev_b32_e32 v13, 2, v2
	ds_bpermute_b32 v2, v13, v0
	s_wait_dscnt 0x1
	ds_bpermute_b32 v3, v13, v1
	ds_bpermute_b32 v12, v13, v8
	;; [unrolled: 1-line block ×3, first 2 shown]
	v_cmpx_gt_i32_e64 s20, v14
	s_cbranch_execz .LBB1_11
; %bb.10:
	s_wait_dscnt 0x2
	v_and_b32_e32 v0, 0xff, v3
	v_and_b32_e32 v1, 0xffffff00, v3
	s_delay_alu instid0(VALU_DEP_1) | instskip(NEXT) | instid1(VALU_DEP_1)
	v_or_b32_e32 v3, v0, v1
	v_cmp_gt_f64_e32 vcc_lo, v[10:11], v[2:3]
	s_wait_dscnt 0x0
	v_and_b32_e32 v0, 0xff, v13
	s_wait_alu 0xfffd
	v_dual_cndmask_b32 v8, v8, v12 :: v_dual_and_b32 v1, 0xffffff00, v13
	s_delay_alu instid0(VALU_DEP_1) | instskip(SKIP_1) | instid1(VALU_DEP_2)
	v_or_b32_e32 v13, v0, v1
	v_dual_cndmask_b32 v1, v11, v3 :: v_dual_cndmask_b32 v0, v10, v2
	v_cndmask_b32_e32 v9, v9, v13, vcc_lo
	s_delay_alu instid0(VALU_DEP_2)
	v_dual_mov_b32 v11, v1 :: v_dual_mov_b32 v10, v0
.LBB1_11:
	s_wait_alu 0xfffe
	s_or_b32 exec_lo, exec_lo, s0
	v_xor_b32_e32 v14, 8, v24
	s_mov_b32 s0, exec_lo
	s_wait_dscnt 0x3
	s_delay_alu instid0(VALU_DEP_1) | instskip(SKIP_1) | instid1(VALU_DEP_1)
	v_and_b32_e32 v2, 31, v14
	s_wait_dscnt 0x0
	v_lshlrev_b32_e32 v13, 2, v2
	ds_bpermute_b32 v2, v13, v0
	ds_bpermute_b32 v3, v13, v1
	;; [unrolled: 1-line block ×4, first 2 shown]
	v_cmpx_gt_i32_e64 s20, v14
	s_cbranch_execz .LBB1_13
; %bb.12:
	s_wait_dscnt 0x2
	v_and_b32_e32 v0, 0xff, v3
	v_and_b32_e32 v1, 0xffffff00, v3
	s_delay_alu instid0(VALU_DEP_1) | instskip(NEXT) | instid1(VALU_DEP_1)
	v_or_b32_e32 v3, v0, v1
	v_cmp_gt_f64_e32 vcc_lo, v[10:11], v[2:3]
	s_wait_dscnt 0x0
	v_and_b32_e32 v0, 0xff, v13
	s_wait_alu 0xfffd
	v_dual_cndmask_b32 v8, v8, v12 :: v_dual_and_b32 v1, 0xffffff00, v13
	s_delay_alu instid0(VALU_DEP_1) | instskip(SKIP_1) | instid1(VALU_DEP_2)
	v_or_b32_e32 v13, v0, v1
	v_dual_cndmask_b32 v1, v11, v3 :: v_dual_cndmask_b32 v0, v10, v2
	v_cndmask_b32_e32 v9, v9, v13, vcc_lo
	s_delay_alu instid0(VALU_DEP_2)
	v_dual_mov_b32 v11, v1 :: v_dual_mov_b32 v10, v0
.LBB1_13:
	s_wait_alu 0xfffe
	s_or_b32 exec_lo, exec_lo, s0
	v_xor_b32_e32 v14, 16, v24
	s_mov_b32 s0, exec_lo
	s_wait_dscnt 0x3
	s_delay_alu instid0(VALU_DEP_1) | instskip(SKIP_1) | instid1(VALU_DEP_1)
	v_and_b32_e32 v2, 31, v14
	s_wait_dscnt 0x0
	v_lshlrev_b32_e32 v13, 2, v2
	ds_bpermute_b32 v2, v13, v0
	ds_bpermute_b32 v3, v13, v1
	;; [unrolled: 1-line block ×4, first 2 shown]
	v_cmpx_gt_i32_e64 s20, v14
	s_cbranch_execz .LBB1_15
; %bb.14:
	s_wait_dscnt 0x2
	v_and_b32_e32 v0, 0xff, v3
	v_and_b32_e32 v1, 0xffffff00, v3
	s_delay_alu instid0(VALU_DEP_1) | instskip(NEXT) | instid1(VALU_DEP_1)
	v_or_b32_e32 v3, v0, v1
	v_cmp_gt_f64_e32 vcc_lo, v[10:11], v[2:3]
	s_wait_dscnt 0x0
	v_and_b32_e32 v0, 0xff, v13
	s_wait_alu 0xfffd
	v_dual_cndmask_b32 v8, v8, v12 :: v_dual_and_b32 v1, 0xffffff00, v13
	s_delay_alu instid0(VALU_DEP_1) | instskip(SKIP_1) | instid1(VALU_DEP_2)
	v_or_b32_e32 v13, v0, v1
	v_dual_cndmask_b32 v1, v11, v3 :: v_dual_cndmask_b32 v0, v10, v2
	v_cndmask_b32_e32 v9, v9, v13, vcc_lo
	s_delay_alu instid0(VALU_DEP_2)
	v_dual_mov_b32 v11, v1 :: v_dual_mov_b32 v10, v0
.LBB1_15:
	s_wait_alu 0xfffe
	s_or_b32 exec_lo, exec_lo, s0
	s_wait_dscnt 0x3
	v_lshlrev_b32_e32 v2, 2, v24
	s_wait_dscnt 0x1
	v_xor_b32_e32 v12, 32, v24
	s_mov_b32 s0, exec_lo
	s_delay_alu instid0(VALU_DEP_2)
	v_and_b32_e32 v3, 0x7c, v2
	ds_bpermute_b32 v0, v3, v0
	ds_bpermute_b32 v1, v3, v1
	;; [unrolled: 1-line block ×4, first 2 shown]
	v_cmpx_gt_i32_e64 s20, v12
	s_cbranch_execz .LBB1_17
; %bb.16:
	s_wait_dscnt 0x2
	v_and_b32_e32 v12, 0xff, v1
	v_and_b32_e32 v1, 0xffffff00, v1
	s_delay_alu instid0(VALU_DEP_1) | instskip(NEXT) | instid1(VALU_DEP_1)
	v_or_b32_e32 v1, v12, v1
	v_cmp_gt_f64_e32 vcc_lo, v[10:11], v[0:1]
	s_wait_dscnt 0x0
	v_and_b32_e32 v12, 0xff, v3
	s_wait_alu 0xfffd
	v_dual_cndmask_b32 v8, v8, v2 :: v_dual_and_b32 v3, 0xffffff00, v3
	v_cndmask_b32_e32 v11, v11, v1, vcc_lo
	s_delay_alu instid0(VALU_DEP_2) | instskip(NEXT) | instid1(VALU_DEP_1)
	v_or_b32_e32 v3, v12, v3
	v_dual_cndmask_b32 v10, v10, v0 :: v_dual_cndmask_b32 v9, v9, v3
.LBB1_17:
	s_wait_alu 0xfffe
	s_or_b32 exec_lo, exec_lo, s0
	v_mbcnt_lo_u32_b32 v25, -1, 0
	s_branch .LBB1_19
.LBB1_18:
	s_wait_dscnt 0x3
	v_xor_b32_e32 v0, 1, v25
	s_delay_alu instid0(VALU_DEP_1) | instskip(SKIP_2) | instid1(VALU_DEP_1)
	v_cmp_gt_i32_e32 vcc_lo, 32, v0
	s_wait_alu 0xfffd
	v_cndmask_b32_e32 v0, v25, v0, vcc_lo
	v_lshlrev_b32_e32 v8, 2, v0
	s_wait_dscnt 0x2
	ds_bpermute_b32 v1, v8, v5
	ds_bpermute_b32 v0, v8, v4
	s_wait_dscnt 0x1
	v_and_b32_e32 v2, 0xff, v1
	v_and_b32_e32 v1, 0xffffff00, v1
	s_delay_alu instid0(VALU_DEP_1) | instskip(SKIP_2) | instid1(VALU_DEP_2)
	v_or_b32_e32 v1, v2, v1
	v_xor_b32_e32 v2, 2, v25
	s_wait_dscnt 0x0
	v_cmp_gt_f64_e32 vcc_lo, v[4:5], v[0:1]
	s_delay_alu instid0(VALU_DEP_2) | instskip(SKIP_1) | instid1(VALU_DEP_1)
	v_cmp_gt_i32_e64 s0, 32, v2
	s_wait_alu 0xf1ff
	v_cndmask_b32_e64 v2, v25, v2, s0
	s_wait_alu 0xfffd
	s_delay_alu instid0(VALU_DEP_1)
	v_dual_cndmask_b32 v0, v4, v0 :: v_dual_lshlrev_b32 v9, 2, v2
	v_cndmask_b32_e32 v1, v5, v1, vcc_lo
	ds_bpermute_b32 v12, v8, v7
	ds_bpermute_b32 v8, v8, v6
	;; [unrolled: 1-line block ×4, first 2 shown]
	s_wait_dscnt 0x3
	v_and_b32_e32 v13, 0xff, v12
	v_and_b32_e32 v12, 0xffffff00, v12
	s_wait_dscnt 0x2
	v_cndmask_b32_e32 v8, v6, v8, vcc_lo
	s_wait_dscnt 0x0
	v_and_b32_e32 v10, 0xff, v3
	v_or_b32_e32 v12, v13, v12
	s_delay_alu instid0(VALU_DEP_1) | instskip(NEXT) | instid1(VALU_DEP_1)
	v_dual_cndmask_b32 v12, v7, v12 :: v_dual_and_b32 v3, 0xffffff00, v3
	v_or_b32_e32 v3, v10, v3
	v_xor_b32_e32 v10, 4, v25
	ds_bpermute_b32 v13, v9, v12
	v_cmp_gt_f64_e64 s0, v[0:1], v[2:3]
	v_cmp_gt_i32_e64 s1, 32, v10
	ds_bpermute_b32 v9, v9, v8
	s_wait_alu 0xf1ff
	v_cndmask_b32_e64 v10, v25, v10, s1
	s_delay_alu instid0(VALU_DEP_1)
	v_lshlrev_b32_e32 v10, 2, v10
	v_cndmask_b32_e64 v1, v1, v3, s0
	v_cndmask_b32_e64 v0, v0, v2, s0
	s_wait_dscnt 0x0
	v_cndmask_b32_e64 v8, v8, v9, s0
	ds_bpermute_b32 v3, v10, v1
	ds_bpermute_b32 v2, v10, v0
	;; [unrolled: 1-line block ×3, first 2 shown]
	s_wait_dscnt 0x2
	v_and_b32_e32 v11, 0xff, v3
	v_and_b32_e32 v3, 0xffffff00, v3
	s_delay_alu instid0(VALU_DEP_1) | instskip(SKIP_2) | instid1(VALU_DEP_2)
	v_or_b32_e32 v3, v11, v3
	v_xor_b32_e32 v11, 8, v25
	s_wait_dscnt 0x1
	v_cmp_gt_f64_e64 s1, v[0:1], v[2:3]
	s_delay_alu instid0(VALU_DEP_2) | instskip(SKIP_1) | instid1(VALU_DEP_1)
	v_cmp_gt_i32_e64 s2, 32, v11
	s_wait_alu 0xf1ff
	v_cndmask_b32_e64 v11, v25, v11, s2
	s_delay_alu instid0(VALU_DEP_1) | instskip(NEXT) | instid1(VALU_DEP_4)
	v_lshlrev_b32_e32 v11, 2, v11
	v_cndmask_b32_e64 v1, v1, v3, s1
	v_cndmask_b32_e64 v0, v0, v2, s1
	s_wait_dscnt 0x0
	v_cndmask_b32_e64 v8, v8, v9, s1
	ds_bpermute_b32 v3, v11, v1
	ds_bpermute_b32 v2, v11, v0
	s_wait_dscnt 0x1
	v_and_b32_e32 v14, 0xff, v3
	v_and_b32_e32 v3, 0xffffff00, v3
	s_delay_alu instid0(VALU_DEP_1) | instskip(SKIP_3) | instid1(VALU_DEP_3)
	v_or_b32_e32 v3, v14, v3
	v_and_b32_e32 v14, 0xff, v13
	v_and_b32_e32 v13, 0xffffff00, v13
	s_wait_dscnt 0x0
	v_cmp_gt_f64_e64 s2, v[0:1], v[2:3]
	s_delay_alu instid0(VALU_DEP_2) | instskip(SKIP_1) | instid1(VALU_DEP_2)
	v_or_b32_e32 v13, v14, v13
	v_xor_b32_e32 v14, 16, v25
	v_cndmask_b32_e64 v12, v12, v13, s0
	s_delay_alu instid0(VALU_DEP_2) | instskip(SKIP_1) | instid1(VALU_DEP_1)
	v_cmp_gt_i32_e64 s3, 32, v14
	s_wait_alu 0xf1ff
	v_cndmask_b32_e64 v13, v25, v14, s3
	ds_bpermute_b32 v14, v10, v12
	v_or_b32_e32 v10, 32, v25
	v_lshlrev_b32_e32 v13, 2, v13
	s_delay_alu instid0(VALU_DEP_2) | instskip(SKIP_1) | instid1(VALU_DEP_1)
	v_cmp_gt_i32_e64 s0, 32, v10
	s_wait_alu 0xf1ff
	v_cndmask_b32_e64 v10, v25, v10, s0
	s_delay_alu instid0(VALU_DEP_1)
	v_lshlrev_b32_e32 v10, 2, v10
	s_wait_dscnt 0x0
	v_and_b32_e32 v15, 0xff, v14
	v_and_b32_e32 v14, 0xffffff00, v14
	v_cndmask_b32_e64 v1, v1, v3, s2
	v_cndmask_b32_e64 v0, v0, v2, s2
	s_delay_alu instid0(VALU_DEP_3)
	v_or_b32_e32 v14, v15, v14
	ds_bpermute_b32 v3, v13, v1
	ds_bpermute_b32 v2, v13, v0
	v_cndmask_b32_e64 v12, v12, v14, s1
	ds_bpermute_b32 v14, v11, v12
	s_wait_dscnt 0x2
	v_and_b32_e32 v15, 0xff, v3
	v_and_b32_e32 v3, 0xffffff00, v3
	s_delay_alu instid0(VALU_DEP_1) | instskip(SKIP_3) | instid1(VALU_DEP_3)
	v_or_b32_e32 v3, v15, v3
	s_wait_dscnt 0x0
	v_and_b32_e32 v15, 0xff, v14
	v_and_b32_e32 v14, 0xffffff00, v14
	v_cmp_gt_f64_e32 vcc_lo, v[0:1], v[2:3]
	s_delay_alu instid0(VALU_DEP_2) | instskip(NEXT) | instid1(VALU_DEP_1)
	v_or_b32_e32 v14, v15, v14
	v_cndmask_b32_e64 v9, v12, v14, s2
	ds_bpermute_b32 v12, v13, v9
	s_wait_dscnt 0x0
	v_and_b32_e32 v14, 0xff, v12
	s_wait_alu 0xfffd
	v_dual_cndmask_b32 v1, v1, v3 :: v_dual_and_b32 v12, 0xffffff00, v12
	ds_bpermute_b32 v3, v11, v8
	v_cndmask_b32_e32 v0, v0, v2, vcc_lo
	ds_bpermute_b32 v11, v10, v1
	ds_bpermute_b32 v2, v10, v0
	s_wait_dscnt 0x2
	v_cndmask_b32_e64 v8, v8, v3, s2
	s_wait_dscnt 0x1
	v_and_b32_e32 v3, 0xff, v11
	v_and_b32_e32 v11, 0xffffff00, v11
	ds_bpermute_b32 v13, v13, v8
	v_or_b32_e32 v3, v3, v11
	v_or_b32_e32 v11, v14, v12
	s_wait_dscnt 0x1
	s_delay_alu instid0(VALU_DEP_2) | instskip(NEXT) | instid1(VALU_DEP_2)
	v_cmp_gt_f64_e64 s0, v[0:1], v[2:3]
	v_cndmask_b32_e32 v9, v9, v11, vcc_lo
	ds_bpermute_b32 v11, v10, v9
	s_wait_dscnt 0x1
	v_cndmask_b32_e32 v8, v8, v13, vcc_lo
	ds_bpermute_b32 v12, v10, v8
	s_wait_dscnt 0x1
	v_and_b32_e32 v10, 0xff, v11
	v_and_b32_e32 v11, 0xffffff00, v11
	s_delay_alu instid0(VALU_DEP_1) | instskip(SKIP_3) | instid1(VALU_DEP_3)
	v_or_b32_e32 v13, v10, v11
	s_wait_alu 0xf1ff
	v_cndmask_b32_e64 v11, v1, v3, s0
	v_cndmask_b32_e64 v10, v0, v2, s0
	;; [unrolled: 1-line block ×3, first 2 shown]
	s_wait_dscnt 0x0
	v_cndmask_b32_e64 v8, v8, v12, s0
.LBB1_19:
	v_ashrrev_i32_e32 v26, 31, v24
	s_cmp_gt_i32 s20, 64
	s_cselect_b32 s22, -1, 0
	s_cmp_lt_i32 s20, 0x41
	s_wait_dscnt 0x3
	v_lshrrev_b32_e32 v0, 26, v26
	s_delay_alu instid0(VALU_DEP_1) | instskip(SKIP_1) | instid1(VALU_DEP_1)
	v_add_nc_u32_e32 v0, v24, v0
	s_wait_dscnt 0x2
	v_and_b32_e32 v1, 0xffffffc0, v0
	v_ashrrev_i32_e32 v27, 6, v0
	s_delay_alu instid0(VALU_DEP_2) | instskip(NEXT) | instid1(VALU_DEP_1)
	v_sub_nc_u32_e32 v12, v24, v1
	v_ashrrev_i32_e32 v13, 31, v12
	s_cbranch_scc1 .LBB1_27
; %bb.20:
	s_mov_b32 s0, exec_lo
	v_cmpx_eq_u32_e32 0, v12
; %bb.21:
	v_lshlrev_b32_e32 v0, 3, v27
	ds_store_2addr_b64 v0, v[10:11], v[8:9] offset1:16
; %bb.22:
	s_wait_alu 0xfffe
	s_or_b32 exec_lo, exec_lo, s0
	v_add_co_u32 v0, vcc_lo, v24, 63
	s_wait_alu 0xfffd
	v_add_co_ci_u32_e64 v1, null, 0, v26, vcc_lo
	s_mov_b32 s3, exec_lo
	s_wait_dscnt 0x0
	s_barrier_signal -1
	s_barrier_wait -1
	global_inv scope:SCOPE_SE
	v_cmpx_gt_u64_e32 0x7f, v[0:1]
	s_cbranch_execz .LBB1_26
; %bb.23:
	v_lshlrev_b64_e32 v[0:1], 6, v[12:13]
	v_dual_mov_b32 v2, s10 :: v_dual_mov_b32 v3, s11
	s_delay_alu instid0(VALU_DEP_2)
	v_cmp_gt_i64_e32 vcc_lo, s[20:21], v[0:1]
	v_dual_mov_b32 v0, s8 :: v_dual_mov_b32 v1, s9
	s_and_saveexec_b32 s0, vcc_lo
; %bb.24:
	v_lshlrev_b32_e32 v0, 3, v12
	ds_load_2addr_b64 v[0:3], v0 offset1:16
; %bb.25:
	s_wait_alu 0xfffe
	s_or_b32 exec_lo, exec_lo, s0
	v_xor_b32_e32 v8, 1, v25
	s_delay_alu instid0(VALU_DEP_1) | instskip(SKIP_2) | instid1(VALU_DEP_1)
	v_cmp_gt_i32_e32 vcc_lo, 32, v8
	s_wait_alu 0xfffd
	v_cndmask_b32_e32 v8, v25, v8, vcc_lo
	v_lshlrev_b32_e32 v10, 2, v8
	s_wait_dscnt 0x0
	ds_bpermute_b32 v9, v10, v1
	ds_bpermute_b32 v8, v10, v0
	s_wait_dscnt 0x1
	v_and_b32_e32 v11, 0xff, v9
	v_and_b32_e32 v9, 0xffffff00, v9
	s_delay_alu instid0(VALU_DEP_1) | instskip(SKIP_2) | instid1(VALU_DEP_2)
	v_or_b32_e32 v9, v11, v9
	v_xor_b32_e32 v11, 2, v25
	s_wait_dscnt 0x0
	v_cmp_gt_f64_e32 vcc_lo, v[0:1], v[8:9]
	s_delay_alu instid0(VALU_DEP_2) | instskip(SKIP_1) | instid1(VALU_DEP_1)
	v_cmp_gt_i32_e64 s0, 32, v11
	s_wait_alu 0xf1ff
	v_cndmask_b32_e64 v11, v25, v11, s0
	s_wait_alu 0xfffd
	v_cndmask_b32_e32 v1, v1, v9, vcc_lo
	ds_bpermute_b32 v15, v10, v3
	ds_bpermute_b32 v10, v10, v2
	v_dual_cndmask_b32 v0, v0, v8 :: v_dual_lshlrev_b32 v11, 2, v11
	s_wait_dscnt 0x1
	v_and_b32_e32 v16, 0xff, v15
	s_wait_dscnt 0x0
	v_cndmask_b32_e32 v10, v2, v10, vcc_lo
	ds_bpermute_b32 v9, v11, v1
	ds_bpermute_b32 v8, v11, v0
	v_and_b32_e32 v15, 0xffffff00, v15
	s_delay_alu instid0(VALU_DEP_1) | instskip(NEXT) | instid1(VALU_DEP_1)
	v_or_b32_e32 v15, v16, v15
	v_cndmask_b32_e32 v3, v3, v15, vcc_lo
	ds_bpermute_b32 v15, v11, v3
	s_wait_dscnt 0x2
	v_and_b32_e32 v14, 0xff, v9
	v_and_b32_e32 v9, 0xffffff00, v9
	s_delay_alu instid0(VALU_DEP_1) | instskip(SKIP_2) | instid1(VALU_DEP_2)
	v_or_b32_e32 v9, v14, v9
	v_xor_b32_e32 v14, 4, v25
	s_wait_dscnt 0x1
	v_cmp_gt_f64_e64 s0, v[0:1], v[8:9]
	s_delay_alu instid0(VALU_DEP_2) | instskip(SKIP_1) | instid1(VALU_DEP_1)
	v_cmp_gt_i32_e64 s1, 32, v14
	s_wait_alu 0xf1ff
	v_cndmask_b32_e64 v14, v25, v14, s1
	s_wait_dscnt 0x0
	v_and_b32_e32 v17, 0xff, v15
	v_and_b32_e32 v15, 0xffffff00, v15
	s_delay_alu instid0(VALU_DEP_3) | instskip(NEXT) | instid1(VALU_DEP_2)
	v_lshlrev_b32_e32 v14, 2, v14
	v_or_b32_e32 v15, v17, v15
	v_cndmask_b32_e64 v1, v1, v9, s0
	v_cndmask_b32_e64 v0, v0, v8, s0
	ds_bpermute_b32 v9, v14, v1
	ds_bpermute_b32 v8, v14, v0
	s_wait_dscnt 0x1
	v_and_b32_e32 v16, 0xff, v9
	v_and_b32_e32 v9, 0xffffff00, v9
	s_delay_alu instid0(VALU_DEP_1) | instskip(SKIP_2) | instid1(VALU_DEP_2)
	v_or_b32_e32 v9, v16, v9
	v_xor_b32_e32 v16, 8, v25
	s_wait_dscnt 0x0
	v_cmp_gt_f64_e64 s1, v[0:1], v[8:9]
	s_delay_alu instid0(VALU_DEP_2) | instskip(SKIP_1) | instid1(VALU_DEP_1)
	v_cmp_gt_i32_e64 s2, 32, v16
	s_wait_alu 0xf1ff
	v_cndmask_b32_e64 v16, v25, v16, s2
	s_delay_alu instid0(VALU_DEP_1) | instskip(NEXT) | instid1(VALU_DEP_4)
	v_lshlrev_b32_e32 v16, 2, v16
	v_cndmask_b32_e64 v1, v1, v9, s1
	v_cndmask_b32_e64 v9, v3, v15, s0
	ds_bpermute_b32 v3, v11, v10
	v_cndmask_b32_e64 v0, v0, v8, s1
	ds_bpermute_b32 v11, v16, v1
	ds_bpermute_b32 v15, v14, v9
	;; [unrolled: 1-line block ×3, first 2 shown]
	s_wait_dscnt 0x3
	v_cndmask_b32_e64 v8, v10, v3, s0
	s_wait_dscnt 0x2
	v_and_b32_e32 v3, 0xff, v11
	v_and_b32_e32 v10, 0xffffff00, v11
	s_wait_dscnt 0x1
	v_and_b32_e32 v11, 0xff, v15
	v_and_b32_e32 v15, 0xffffff00, v15
	s_delay_alu instid0(VALU_DEP_3) | instskip(NEXT) | instid1(VALU_DEP_2)
	v_or_b32_e32 v3, v3, v10
	v_or_b32_e32 v10, v11, v15
	s_wait_dscnt 0x0
	s_delay_alu instid0(VALU_DEP_2) | instskip(NEXT) | instid1(VALU_DEP_2)
	v_cmp_gt_f64_e32 vcc_lo, v[0:1], v[2:3]
	v_cndmask_b32_e64 v9, v9, v10, s1
	ds_bpermute_b32 v10, v16, v9
	s_wait_dscnt 0x0
	v_and_b32_e32 v11, 0xff, v10
	v_and_b32_e32 v10, 0xffffff00, v10
	s_delay_alu instid0(VALU_DEP_1)
	v_or_b32_e32 v15, v11, v10
	s_wait_alu 0xfffd
	v_cndmask_b32_e32 v11, v1, v3, vcc_lo
	ds_bpermute_b32 v14, v14, v8
	v_dual_cndmask_b32 v10, v0, v2 :: v_dual_cndmask_b32 v9, v9, v15
	s_wait_dscnt 0x0
	v_cndmask_b32_e64 v8, v8, v14, s1
	ds_bpermute_b32 v14, v16, v8
	s_wait_dscnt 0x0
	v_cndmask_b32_e32 v8, v8, v14, vcc_lo
.LBB1_26:
	s_wait_alu 0xfffe
	s_or_b32 exec_lo, exec_lo, s3
	s_wait_loadcnt 0x0
	s_barrier_signal -1
	s_barrier_wait -1
	global_inv scope:SCOPE_SE
.LBB1_27:
	s_and_b32 s0, ttmp7, 0xffff
	s_mul_i32 s1, s17, s16
	s_wait_alu 0xfffe
	s_lshr_b32 s2, ttmp7, 16
	s_mul_i32 s0, s16, s0
	s_wait_alu 0xfffe
	s_mul_i32 s2, s1, s2
	s_add_co_i32 s0, s0, ttmp9
	s_mul_i32 s1, s18, s1
	s_wait_alu 0xfffe
	s_add_co_i32 s0, s0, s2
	s_ashr_i32 s3, s1, 31
	s_wait_alu 0xfffe
	s_ashr_i32 s2, s0, 31
	s_lshr_b32 s3, s3, 27
	s_wait_alu 0xfffe
	s_lshr_b32 s2, s2, 27
	s_wait_alu 0xfffe
	s_add_co_i32 s17, s0, s2
	s_add_co_i32 s2, s1, s3
	s_wait_alu 0xfffe
	s_and_b32 s3, s17, 0xffffffe0
	s_and_b32 s18, s2, 0xffffffe0
	s_wait_alu 0xfffe
	s_sub_co_i32 s16, s0, s3
	s_sub_co_i32 s0, s1, s18
	s_ashr_i32 s2, s2, 5
	s_wait_alu 0xfffe
	s_cmp_lt_i32 s16, s0
	s_cselect_b32 s0, -1, 0
	s_wait_alu 0xfffe
	s_cmp_lg_u32 s0, 0
	v_cmp_eq_u32_e64 s0, 0, v24
	s_add_co_ci_u32 s2, s2, 0
	s_wait_alu 0xfffe
	s_cmp_gt_u32 s2, 1
	s_cbranch_scc0 .LBB1_60
; %bb.28:
	s_add_co_i32 s1, s1, 31
	s_wait_alu 0xfffe
	s_ashr_i32 s3, s1, 31
	s_wait_alu 0xfffe
	s_lshr_b32 s3, s3, 27
	s_wait_alu 0xfffe
	s_add_co_i32 s1, s1, s3
	s_wait_alu 0xfffe
	s_ashr_i32 s3, s1, 5
	s_wait_alu 0xfffe
	s_mul_i32 s3, s3, s16
	s_and_saveexec_b32 s1, s0
	s_cbranch_execz .LBB1_30
; %bb.29:
	s_ashr_i32 s17, s17, 5
	s_lshl_b32 s26, s16, 2
	s_wait_alu 0xfffe
	s_add_co_i32 s24, s3, s17
	s_add_co_i32 s17, s2, -1
	s_ashr_i32 s25, s24, 31
	s_wait_alu 0xfffe
	v_dual_mov_b32 v0, 0 :: v_dual_mov_b32 v1, s17
	s_lshl_b64 s[24:25], s[24:25], 3
	s_ashr_i32 s27, s26, 31
	s_add_nc_u64 s[28:29], s[14:15], s[24:25]
	s_add_nc_u64 s[24:25], s[4:5], s[24:25]
	s_clause 0x1
	global_store_b64 v0, v[10:11], s[28:29] scope:SCOPE_DEV
	global_store_b64 v0, v[8:9], s[24:25] scope:SCOPE_DEV
	s_lshl_b64 s[24:25], s[26:27], 2
	s_wait_storecnt 0x0
	s_wait_loadcnt_dscnt 0x0
	s_add_nc_u64 s[12:13], s[12:13], s[24:25]
	s_waitcnt vmcnt(3) expcnt(0) lgkmcnt(55)
	global_atomic_inc_u32 v1, v0, v1, s[12:13] th:TH_ATOMIC_RETURN scope:SCOPE_DEV
	s_wait_loadcnt 0x0
	v_cmp_eq_u32_e32 vcc_lo, s17, v1
	s_wait_alu 0xfffd
	v_cndmask_b32_e64 v1, 0, 1, vcc_lo
	ds_store_b8 v0, v1 offset:256
.LBB1_30:
	s_wait_alu 0xfffe
	s_or_b32 exec_lo, exec_lo, s1
	v_mov_b32_e32 v0, 0
	s_wait_dscnt 0x0
	v_mov_b32_e32 v2, v6
	s_wait_loadcnt 0x0
	s_barrier_signal -1
	s_barrier_wait -1
	global_inv scope:SCOPE_SE
	v_mov_b32_e32 v3, v7
	ds_load_u8 v0, v0 offset:256
	s_mov_b32 s1, 0
	s_wait_dscnt 0x0
	v_and_b32_e32 v0, 1, v0
	s_delay_alu instid0(VALU_DEP_1)
	v_cmp_eq_u32_e32 vcc_lo, 0, v0
	v_dual_mov_b32 v0, v4 :: v_dual_mov_b32 v1, v5
	s_cbranch_vccnz .LBB1_59
; %bb.31:
	v_dual_mov_b32 v2, s8 :: v_dual_mov_b32 v3, s9
	v_dual_mov_b32 v0, s10 :: v_dual_mov_b32 v1, s11
	s_mov_b32 s12, exec_lo
	s_wait_loadcnt 0x0
	global_inv scope:SCOPE_SE
	v_cmpx_gt_u32_e64 s2, v24
	s_cbranch_execz .LBB1_35
; %bb.32:
	v_dual_mov_b32 v2, s8 :: v_dual_mov_b32 v3, s9
	v_dual_mov_b32 v0, s10 :: v_dual_mov_b32 v1, s11
	;; [unrolled: 1-line block ×3, first 2 shown]
	s_mov_b32 s13, 0
.LBB1_33:                               ; =>This Inner Loop Header: Depth=1
	s_delay_alu instid0(VALU_DEP_1) | instskip(SKIP_1) | instid1(VALU_DEP_2)
	v_add_nc_u32_e32 v14, s3, v16
	v_add_nc_u32_e32 v16, s20, v16
	v_lshlrev_b64_e32 v[17:18], 3, v[14:15]
	s_delay_alu instid0(VALU_DEP_2)
	v_cmp_le_u32_e64 s1, s2, v16
	s_wait_alu 0xfffe
	s_or_b32 s13, s1, s13
	v_add_co_u32 v19, vcc_lo, s14, v17
	s_wait_alu 0xfffd
	v_add_co_ci_u32_e64 v20, null, s15, v18, vcc_lo
	v_add_co_u32 v17, vcc_lo, s4, v17
	s_wait_alu 0xfffd
	v_add_co_ci_u32_e64 v18, null, s5, v18, vcc_lo
	global_load_b64 v[19:20], v[19:20], off scope:SCOPE_DEV
	global_load_b64 v[17:18], v[17:18], off scope:SCOPE_DEV
	s_wait_loadcnt 0x1
	v_cmp_gt_f64_e32 vcc_lo, v[2:3], v[19:20]
	s_wait_alu 0xfffd
	v_dual_cndmask_b32 v3, v3, v20 :: v_dual_cndmask_b32 v2, v2, v19
	s_wait_loadcnt 0x0
	v_dual_cndmask_b32 v1, v1, v18 :: v_dual_cndmask_b32 v0, v0, v17
	s_and_not1_b32 exec_lo, exec_lo, s13
	s_cbranch_execnz .LBB1_33
; %bb.34:
	s_or_b32 exec_lo, exec_lo, s13
.LBB1_35:
	s_delay_alu instid0(SALU_CYCLE_1) | instskip(NEXT) | instid1(SALU_CYCLE_1)
	s_or_b32 exec_lo, exec_lo, s12
	s_and_not1_b32 vcc_lo, exec_lo, s19
	s_wait_alu 0xfffe
	s_cbranch_vccnz .LBB1_67
; %bb.36:
	v_xor_b32_e32 v14, 1, v24
	v_dual_mov_b32 v17, v3 :: v_dual_mov_b32 v18, v2
	v_mov_b32_e32 v21, v1
	v_mov_b32_e32 v19, v3
	s_delay_alu instid0(VALU_DEP_4) | instskip(SKIP_1) | instid1(VALU_DEP_2)
	v_dual_mov_b32 v20, v0 :: v_dual_and_b32 v15, 31, v14
	v_cmp_gt_i32_e32 vcc_lo, s20, v14
	v_dual_mov_b32 v16, v2 :: v_dual_lshlrev_b32 v15, 2, v15
	ds_bpermute_b32 v22, v15, v2
	ds_bpermute_b32 v23, v15, v3
	;; [unrolled: 1-line block ×4, first 2 shown]
	v_dual_mov_b32 v15, v1 :: v_dual_mov_b32 v14, v0
	s_and_saveexec_b32 s1, vcc_lo
	s_cbranch_execz .LBB1_38
; %bb.37:
	s_wait_dscnt 0x2
	v_and_b32_e32 v14, 0xff, v23
	v_and_b32_e32 v15, 0xffffff00, v23
	s_delay_alu instid0(VALU_DEP_1) | instskip(NEXT) | instid1(VALU_DEP_1)
	v_or_b32_e32 v23, v14, v15
	v_cmp_gt_f64_e32 vcc_lo, v[2:3], v[22:23]
	s_wait_dscnt 0x0
	v_and_b32_e32 v14, 0xff, v29
	s_wait_alu 0xfffd
	v_dual_cndmask_b32 v16, v2, v22 :: v_dual_and_b32 v15, 0xffffff00, v29
	v_cndmask_b32_e32 v17, v3, v23, vcc_lo
	s_delay_alu instid0(VALU_DEP_2) | instskip(SKIP_1) | instid1(VALU_DEP_3)
	v_or_b32_e32 v14, v14, v15
	v_cndmask_b32_e32 v20, v0, v28, vcc_lo
	v_dual_mov_b32 v18, v16 :: v_dual_mov_b32 v19, v17
	s_delay_alu instid0(VALU_DEP_3) | instskip(NEXT) | instid1(VALU_DEP_1)
	v_cndmask_b32_e32 v21, v1, v14, vcc_lo
	v_dual_mov_b32 v14, v20 :: v_dual_mov_b32 v15, v21
.LBB1_38:
	s_wait_alu 0xfffe
	s_or_b32 exec_lo, exec_lo, s1
	s_wait_dscnt 0x1
	v_xor_b32_e32 v28, 2, v24
	s_mov_b32 s1, exec_lo
	s_delay_alu instid0(VALU_DEP_1) | instskip(SKIP_1) | instid1(VALU_DEP_1)
	v_and_b32_e32 v22, 31, v28
	s_wait_dscnt 0x0
	v_lshlrev_b32_e32 v29, 2, v22
	ds_bpermute_b32 v22, v29, v18
	ds_bpermute_b32 v23, v29, v19
	;; [unrolled: 1-line block ×4, first 2 shown]
	v_cmpx_gt_i32_e64 s20, v28
	s_cbranch_execz .LBB1_40
; %bb.39:
	s_wait_dscnt 0x2
	v_and_b32_e32 v18, 0xff, v23
	v_and_b32_e32 v19, 0xffffff00, v23
	s_delay_alu instid0(VALU_DEP_1) | instskip(NEXT) | instid1(VALU_DEP_1)
	v_or_b32_e32 v23, v18, v19
	v_cmp_gt_f64_e32 vcc_lo, v[16:17], v[22:23]
	s_wait_dscnt 0x0
	v_and_b32_e32 v18, 0xff, v21
	s_wait_alu 0xfffd
	v_dual_cndmask_b32 v14, v14, v20 :: v_dual_and_b32 v19, 0xffffff00, v21
	v_cndmask_b32_e32 v17, v17, v23, vcc_lo
	s_delay_alu instid0(VALU_DEP_2) | instskip(NEXT) | instid1(VALU_DEP_2)
	v_or_b32_e32 v18, v18, v19
	v_dual_cndmask_b32 v16, v16, v22 :: v_dual_mov_b32 v19, v17
	s_delay_alu instid0(VALU_DEP_1)
	v_dual_cndmask_b32 v15, v15, v18 :: v_dual_mov_b32 v18, v16
.LBB1_40:
	s_wait_alu 0xfffe
	s_or_b32 exec_lo, exec_lo, s1
	v_xor_b32_e32 v28, 4, v24
	s_mov_b32 s1, exec_lo
	s_wait_dscnt 0x1
	s_delay_alu instid0(VALU_DEP_1) | instskip(NEXT) | instid1(VALU_DEP_1)
	v_and_b32_e32 v20, 31, v28
	v_lshlrev_b32_e32 v23, 2, v20
	ds_bpermute_b32 v20, v23, v18
	s_wait_dscnt 0x1
	ds_bpermute_b32 v21, v23, v19
	ds_bpermute_b32 v22, v23, v14
	;; [unrolled: 1-line block ×3, first 2 shown]
	v_cmpx_gt_i32_e64 s20, v28
	s_cbranch_execz .LBB1_42
; %bb.41:
	s_wait_dscnt 0x2
	v_and_b32_e32 v18, 0xff, v21
	v_and_b32_e32 v19, 0xffffff00, v21
	s_delay_alu instid0(VALU_DEP_1) | instskip(NEXT) | instid1(VALU_DEP_1)
	v_or_b32_e32 v21, v18, v19
	v_cmp_gt_f64_e32 vcc_lo, v[16:17], v[20:21]
	s_wait_dscnt 0x0
	v_and_b32_e32 v18, 0xff, v23
	s_wait_alu 0xfffd
	v_dual_cndmask_b32 v14, v14, v22 :: v_dual_and_b32 v19, 0xffffff00, v23
	s_delay_alu instid0(VALU_DEP_1) | instskip(SKIP_1) | instid1(VALU_DEP_1)
	v_or_b32_e32 v23, v18, v19
	v_dual_cndmask_b32 v19, v17, v21 :: v_dual_cndmask_b32 v18, v16, v20
	v_dual_cndmask_b32 v15, v15, v23 :: v_dual_mov_b32 v16, v18
	s_delay_alu instid0(VALU_DEP_2)
	v_mov_b32_e32 v17, v19
.LBB1_42:
	s_wait_alu 0xfffe
	s_or_b32 exec_lo, exec_lo, s1
	v_xor_b32_e32 v28, 8, v24
	s_mov_b32 s1, exec_lo
	s_wait_dscnt 0x3
	s_delay_alu instid0(VALU_DEP_1) | instskip(SKIP_1) | instid1(VALU_DEP_1)
	v_and_b32_e32 v20, 31, v28
	s_wait_dscnt 0x0
	v_lshlrev_b32_e32 v23, 2, v20
	ds_bpermute_b32 v20, v23, v18
	ds_bpermute_b32 v21, v23, v19
	;; [unrolled: 1-line block ×4, first 2 shown]
	v_cmpx_gt_i32_e64 s20, v28
	s_cbranch_execz .LBB1_44
; %bb.43:
	s_wait_dscnt 0x2
	v_and_b32_e32 v18, 0xff, v21
	v_and_b32_e32 v19, 0xffffff00, v21
	s_delay_alu instid0(VALU_DEP_1) | instskip(NEXT) | instid1(VALU_DEP_1)
	v_or_b32_e32 v21, v18, v19
	v_cmp_gt_f64_e32 vcc_lo, v[16:17], v[20:21]
	s_wait_dscnt 0x0
	v_and_b32_e32 v18, 0xff, v23
	s_wait_alu 0xfffd
	v_dual_cndmask_b32 v14, v14, v22 :: v_dual_and_b32 v19, 0xffffff00, v23
	s_delay_alu instid0(VALU_DEP_1) | instskip(SKIP_1) | instid1(VALU_DEP_1)
	v_or_b32_e32 v23, v18, v19
	v_dual_cndmask_b32 v19, v17, v21 :: v_dual_cndmask_b32 v18, v16, v20
	v_dual_cndmask_b32 v15, v15, v23 :: v_dual_mov_b32 v16, v18
	s_delay_alu instid0(VALU_DEP_2)
	v_mov_b32_e32 v17, v19
.LBB1_44:
	s_wait_alu 0xfffe
	s_or_b32 exec_lo, exec_lo, s1
	v_xor_b32_e32 v28, 16, v24
	s_mov_b32 s1, exec_lo
	s_wait_dscnt 0x3
	s_delay_alu instid0(VALU_DEP_1) | instskip(SKIP_1) | instid1(VALU_DEP_1)
	v_and_b32_e32 v20, 31, v28
	s_wait_dscnt 0x0
	v_lshlrev_b32_e32 v23, 2, v20
	ds_bpermute_b32 v20, v23, v18
	ds_bpermute_b32 v21, v23, v19
	;; [unrolled: 1-line block ×4, first 2 shown]
	v_cmpx_gt_i32_e64 s20, v28
	s_cbranch_execz .LBB1_46
; %bb.45:
	s_wait_dscnt 0x2
	v_and_b32_e32 v18, 0xff, v21
	v_and_b32_e32 v19, 0xffffff00, v21
	s_delay_alu instid0(VALU_DEP_1) | instskip(NEXT) | instid1(VALU_DEP_1)
	v_or_b32_e32 v21, v18, v19
	v_cmp_gt_f64_e32 vcc_lo, v[16:17], v[20:21]
	s_wait_dscnt 0x0
	v_and_b32_e32 v18, 0xff, v23
	s_wait_alu 0xfffd
	v_dual_cndmask_b32 v14, v14, v22 :: v_dual_and_b32 v19, 0xffffff00, v23
	s_delay_alu instid0(VALU_DEP_1) | instskip(SKIP_1) | instid1(VALU_DEP_1)
	v_or_b32_e32 v23, v18, v19
	v_dual_cndmask_b32 v19, v17, v21 :: v_dual_cndmask_b32 v18, v16, v20
	v_dual_cndmask_b32 v15, v15, v23 :: v_dual_mov_b32 v16, v18
	s_delay_alu instid0(VALU_DEP_2)
	v_mov_b32_e32 v17, v19
.LBB1_46:
	s_wait_alu 0xfffe
	s_or_b32 exec_lo, exec_lo, s1
	s_wait_dscnt 0x3
	v_lshlrev_b32_e32 v20, 2, v24
	s_wait_dscnt 0x1
	v_xor_b32_e32 v22, 32, v24
	s_mov_b32 s1, exec_lo
	s_delay_alu instid0(VALU_DEP_2)
	v_and_b32_e32 v21, 0x7c, v20
	ds_bpermute_b32 v18, v21, v18
	ds_bpermute_b32 v19, v21, v19
	;; [unrolled: 1-line block ×4, first 2 shown]
	v_cmpx_gt_i32_e64 s20, v22
	s_cbranch_execz .LBB1_48
; %bb.47:
	s_wait_dscnt 0x2
	v_and_b32_e32 v22, 0xff, v19
	v_and_b32_e32 v19, 0xffffff00, v19
	s_delay_alu instid0(VALU_DEP_1) | instskip(NEXT) | instid1(VALU_DEP_1)
	v_or_b32_e32 v19, v22, v19
	v_cmp_gt_f64_e32 vcc_lo, v[16:17], v[18:19]
	s_wait_dscnt 0x0
	v_and_b32_e32 v22, 0xff, v21
	s_wait_alu 0xfffd
	v_dual_cndmask_b32 v14, v14, v20 :: v_dual_and_b32 v21, 0xffffff00, v21
	v_cndmask_b32_e32 v17, v17, v19, vcc_lo
	s_delay_alu instid0(VALU_DEP_2) | instskip(NEXT) | instid1(VALU_DEP_1)
	v_or_b32_e32 v21, v22, v21
	v_dual_cndmask_b32 v16, v16, v18 :: v_dual_cndmask_b32 v15, v15, v21
.LBB1_48:
	s_wait_alu 0xfffe
	s_or_b32 exec_lo, exec_lo, s1
	s_branch .LBB1_50
.LBB1_49:
	v_xor_b32_e32 v14, 1, v25
	s_delay_alu instid0(VALU_DEP_1) | instskip(SKIP_2) | instid1(VALU_DEP_1)
	v_cmp_gt_i32_e32 vcc_lo, 32, v14
	s_wait_alu 0xfffd
	v_cndmask_b32_e32 v14, v25, v14, vcc_lo
	v_lshlrev_b32_e32 v16, 2, v14
	ds_bpermute_b32 v15, v16, v3
	ds_bpermute_b32 v14, v16, v2
	s_wait_dscnt 0x1
	v_and_b32_e32 v17, 0xff, v15
	v_and_b32_e32 v15, 0xffffff00, v15
	s_delay_alu instid0(VALU_DEP_1) | instskip(SKIP_2) | instid1(VALU_DEP_2)
	v_or_b32_e32 v15, v17, v15
	v_xor_b32_e32 v17, 2, v25
	s_wait_dscnt 0x0
	v_cmp_gt_f64_e32 vcc_lo, v[2:3], v[14:15]
	s_delay_alu instid0(VALU_DEP_2) | instskip(SKIP_1) | instid1(VALU_DEP_1)
	v_cmp_gt_i32_e64 s1, 32, v17
	s_wait_alu 0xf1ff
	v_cndmask_b32_e64 v17, v25, v17, s1
	s_wait_alu 0xfffd
	v_cndmask_b32_e32 v3, v3, v15, vcc_lo
	ds_bpermute_b32 v20, v16, v1
	ds_bpermute_b32 v16, v16, v0
	v_dual_cndmask_b32 v2, v2, v14 :: v_dual_lshlrev_b32 v17, 2, v17
	ds_bpermute_b32 v15, v17, v3
	ds_bpermute_b32 v14, v17, v2
	s_wait_dscnt 0x3
	v_and_b32_e32 v21, 0xff, v20
	v_and_b32_e32 v20, 0xffffff00, v20
	s_delay_alu instid0(VALU_DEP_1) | instskip(SKIP_3) | instid1(VALU_DEP_3)
	v_or_b32_e32 v20, v21, v20
	s_wait_dscnt 0x1
	v_and_b32_e32 v18, 0xff, v15
	v_and_b32_e32 v15, 0xffffff00, v15
	v_cndmask_b32_e32 v1, v1, v20, vcc_lo
	s_delay_alu instid0(VALU_DEP_2) | instskip(SKIP_2) | instid1(VALU_DEP_2)
	v_or_b32_e32 v15, v18, v15
	v_xor_b32_e32 v18, 4, v25
	s_wait_dscnt 0x0
	v_cmp_gt_f64_e64 s1, v[2:3], v[14:15]
	s_delay_alu instid0(VALU_DEP_2) | instskip(SKIP_1) | instid1(VALU_DEP_1)
	v_cmp_gt_i32_e64 s2, 32, v18
	s_wait_alu 0xf1ff
	v_cndmask_b32_e64 v18, v25, v18, s2
	s_delay_alu instid0(VALU_DEP_1) | instskip(NEXT) | instid1(VALU_DEP_4)
	v_lshlrev_b32_e32 v18, 2, v18
	v_cndmask_b32_e64 v3, v3, v15, s1
	v_cndmask_b32_e64 v2, v2, v14, s1
	ds_bpermute_b32 v15, v18, v3
	ds_bpermute_b32 v14, v18, v2
	s_wait_dscnt 0x1
	v_and_b32_e32 v19, 0xff, v15
	v_and_b32_e32 v15, 0xffffff00, v15
	s_delay_alu instid0(VALU_DEP_1) | instskip(SKIP_2) | instid1(VALU_DEP_2)
	v_or_b32_e32 v15, v19, v15
	v_xor_b32_e32 v19, 8, v25
	s_wait_dscnt 0x0
	v_cmp_gt_f64_e64 s2, v[2:3], v[14:15]
	s_delay_alu instid0(VALU_DEP_2) | instskip(SKIP_1) | instid1(VALU_DEP_1)
	v_cmp_gt_i32_e64 s3, 32, v19
	s_wait_alu 0xf1ff
	v_cndmask_b32_e64 v19, v25, v19, s3
	s_delay_alu instid0(VALU_DEP_1) | instskip(NEXT) | instid1(VALU_DEP_4)
	v_lshlrev_b32_e32 v19, 2, v19
	v_cndmask_b32_e64 v3, v3, v15, s2
	v_cndmask_b32_e64 v2, v2, v14, s2
	ds_bpermute_b32 v15, v19, v3
	ds_bpermute_b32 v14, v19, v2
	s_wait_dscnt 0x1
	v_and_b32_e32 v21, 0xff, v15
	v_and_b32_e32 v15, 0xffffff00, v15
	s_delay_alu instid0(VALU_DEP_1) | instskip(SKIP_1) | instid1(VALU_DEP_1)
	v_or_b32_e32 v15, v21, v15
	s_wait_dscnt 0x0
	v_cmp_gt_f64_e64 s3, v[2:3], v[14:15]
	s_wait_alu 0xf1ff
	s_delay_alu instid0(VALU_DEP_1)
	v_cndmask_b32_e64 v2, v2, v14, s3
	v_cndmask_b32_e32 v14, v0, v16, vcc_lo
	ds_bpermute_b32 v20, v17, v1
	v_cndmask_b32_e64 v3, v3, v15, s3
	ds_bpermute_b32 v16, v17, v14
	s_wait_dscnt 0x1
	v_and_b32_e32 v21, 0xff, v20
	v_and_b32_e32 v20, 0xffffff00, v20
	s_wait_dscnt 0x0
	v_cndmask_b32_e64 v14, v14, v16, s1
	s_delay_alu instid0(VALU_DEP_2) | instskip(SKIP_1) | instid1(VALU_DEP_2)
	v_or_b32_e32 v20, v21, v20
	v_xor_b32_e32 v21, 16, v25
	v_cndmask_b32_e64 v1, v1, v20, s1
	s_delay_alu instid0(VALU_DEP_2) | instskip(SKIP_1) | instid1(VALU_DEP_1)
	v_cmp_gt_i32_e64 s4, 32, v21
	s_wait_alu 0xf1ff
	v_cndmask_b32_e64 v20, v25, v21, s4
	ds_bpermute_b32 v21, v18, v1
	v_lshlrev_b32_e32 v20, 2, v20
	ds_bpermute_b32 v15, v20, v3
	ds_bpermute_b32 v0, v20, v2
	s_wait_dscnt 0x2
	v_and_b32_e32 v17, 0xff, v21
	v_and_b32_e32 v21, 0xffffff00, v21
	s_delay_alu instid0(VALU_DEP_1) | instskip(SKIP_3) | instid1(VALU_DEP_3)
	v_or_b32_e32 v17, v17, v21
	s_wait_dscnt 0x1
	v_and_b32_e32 v21, 0xff, v15
	v_and_b32_e32 v15, 0xffffff00, v15
	v_cndmask_b32_e64 v17, v1, v17, s2
	s_delay_alu instid0(VALU_DEP_2)
	v_or_b32_e32 v1, v21, v15
	ds_bpermute_b32 v15, v19, v17
	s_wait_dscnt 0x1
	v_cmp_gt_f64_e32 vcc_lo, v[2:3], v[0:1]
	s_wait_dscnt 0x0
	v_and_b32_e32 v21, 0xff, v15
	v_and_b32_e32 v15, 0xffffff00, v15
	s_delay_alu instid0(VALU_DEP_1) | instskip(NEXT) | instid1(VALU_DEP_1)
	v_or_b32_e32 v15, v21, v15
	v_cndmask_b32_e64 v15, v17, v15, s3
	ds_bpermute_b32 v17, v20, v15
	s_wait_alu 0xfffd
	v_cndmask_b32_e32 v1, v3, v1, vcc_lo
	ds_bpermute_b32 v16, v18, v14
	v_or_b32_e32 v18, 32, v25
	v_cndmask_b32_e32 v0, v2, v0, vcc_lo
	s_delay_alu instid0(VALU_DEP_2) | instskip(SKIP_1) | instid1(VALU_DEP_1)
	v_cmp_gt_i32_e64 s1, 32, v18
	s_wait_alu 0xf1ff
	v_cndmask_b32_e64 v18, v25, v18, s1
	s_delay_alu instid0(VALU_DEP_1)
	v_lshlrev_b32_e32 v18, 2, v18
	s_wait_dscnt 0x0
	v_cndmask_b32_e64 v14, v14, v16, s2
	ds_bpermute_b32 v16, v18, v1
	ds_bpermute_b32 v3, v19, v14
	v_and_b32_e32 v19, 0xff, v17
	v_and_b32_e32 v17, 0xffffff00, v17
	s_wait_dscnt 0x0
	v_cndmask_b32_e64 v14, v14, v3, s3
	v_and_b32_e32 v3, 0xff, v16
	v_and_b32_e32 v16, 0xffffff00, v16
	ds_bpermute_b32 v20, v20, v14
	v_or_b32_e32 v3, v3, v16
	v_or_b32_e32 v16, v19, v17
	s_delay_alu instid0(VALU_DEP_1)
	v_cndmask_b32_e32 v15, v15, v16, vcc_lo
	ds_bpermute_b32 v2, v18, v0
	ds_bpermute_b32 v16, v18, v15
	s_wait_dscnt 0x2
	v_cndmask_b32_e32 v14, v14, v20, vcc_lo
	ds_bpermute_b32 v18, v18, v14
	s_wait_dscnt 0x2
	v_cmp_gt_f64_e64 s1, v[0:1], v[2:3]
	s_wait_dscnt 0x1
	v_and_b32_e32 v17, 0xff, v16
	v_and_b32_e32 v16, 0xffffff00, v16
	s_delay_alu instid0(VALU_DEP_1) | instskip(SKIP_1) | instid1(VALU_DEP_4)
	v_or_b32_e32 v19, v17, v16
	s_wait_alu 0xf1ff
	v_cndmask_b32_e64 v17, v1, v3, s1
	v_cndmask_b32_e64 v16, v0, v2, s1
	s_delay_alu instid0(VALU_DEP_3)
	v_cndmask_b32_e64 v15, v15, v19, s1
	s_wait_dscnt 0x0
	v_cndmask_b32_e64 v14, v14, v18, s1
.LBB1_50:
	s_and_not1_b32 vcc_lo, exec_lo, s22
	s_wait_alu 0xfffe
	s_cbranch_vccnz .LBB1_58
; %bb.51:
	s_mov_b32 s1, exec_lo
	v_cmpx_eq_u32_e32 0, v12
; %bb.52:
	v_lshlrev_b32_e32 v0, 3, v27
	ds_store_2addr_b64 v0, v[16:17], v[14:15] offset1:16
; %bb.53:
	s_wait_alu 0xfffe
	s_or_b32 exec_lo, exec_lo, s1
	v_add_co_u32 v0, vcc_lo, v24, 63
	s_wait_alu 0xfffd
	v_add_co_ci_u32_e64 v1, null, 0, v26, vcc_lo
	s_mov_b32 s4, exec_lo
	s_wait_loadcnt_dscnt 0x0
	s_barrier_signal -1
	s_barrier_wait -1
	global_inv scope:SCOPE_SE
	v_cmpx_gt_u64_e32 0x7f, v[0:1]
	s_cbranch_execz .LBB1_57
; %bb.54:
	v_lshlrev_b64_e32 v[0:1], 6, v[12:13]
	v_dual_mov_b32 v2, s10 :: v_dual_mov_b32 v3, s11
	s_delay_alu instid0(VALU_DEP_2)
	v_cmp_gt_i64_e32 vcc_lo, s[20:21], v[0:1]
	v_dual_mov_b32 v0, s8 :: v_dual_mov_b32 v1, s9
	s_and_saveexec_b32 s1, vcc_lo
; %bb.55:
	v_lshlrev_b32_e32 v0, 3, v12
	ds_load_2addr_b64 v[0:3], v0 offset1:16
; %bb.56:
	s_wait_alu 0xfffe
	s_or_b32 exec_lo, exec_lo, s1
	v_xor_b32_e32 v12, 1, v25
	s_delay_alu instid0(VALU_DEP_1) | instskip(SKIP_2) | instid1(VALU_DEP_1)
	v_cmp_gt_i32_e32 vcc_lo, 32, v12
	s_wait_alu 0xfffd
	v_cndmask_b32_e32 v12, v25, v12, vcc_lo
	v_lshlrev_b32_e32 v14, 2, v12
	s_wait_dscnt 0x0
	ds_bpermute_b32 v13, v14, v1
	ds_bpermute_b32 v12, v14, v0
	s_wait_dscnt 0x1
	v_and_b32_e32 v15, 0xff, v13
	v_and_b32_e32 v13, 0xffffff00, v13
	s_delay_alu instid0(VALU_DEP_1) | instskip(SKIP_2) | instid1(VALU_DEP_2)
	v_or_b32_e32 v13, v15, v13
	v_xor_b32_e32 v15, 2, v25
	s_wait_dscnt 0x0
	v_cmp_gt_f64_e32 vcc_lo, v[0:1], v[12:13]
	s_delay_alu instid0(VALU_DEP_2) | instskip(SKIP_1) | instid1(VALU_DEP_1)
	v_cmp_gt_i32_e64 s1, 32, v15
	s_wait_alu 0xf1ff
	v_cndmask_b32_e64 v15, v25, v15, s1
	s_wait_alu 0xfffd
	v_cndmask_b32_e32 v1, v1, v13, vcc_lo
	ds_bpermute_b32 v17, v14, v3
	ds_bpermute_b32 v14, v14, v2
	v_dual_cndmask_b32 v0, v0, v12 :: v_dual_lshlrev_b32 v15, 2, v15
	s_wait_dscnt 0x1
	v_and_b32_e32 v18, 0xff, v17
	s_wait_dscnt 0x0
	v_cndmask_b32_e32 v14, v2, v14, vcc_lo
	ds_bpermute_b32 v13, v15, v1
	ds_bpermute_b32 v12, v15, v0
	v_and_b32_e32 v17, 0xffffff00, v17
	s_delay_alu instid0(VALU_DEP_1) | instskip(NEXT) | instid1(VALU_DEP_1)
	v_or_b32_e32 v17, v18, v17
	v_cndmask_b32_e32 v3, v3, v17, vcc_lo
	ds_bpermute_b32 v17, v15, v3
	s_wait_dscnt 0x2
	v_and_b32_e32 v16, 0xff, v13
	v_and_b32_e32 v13, 0xffffff00, v13
	s_delay_alu instid0(VALU_DEP_1) | instskip(SKIP_2) | instid1(VALU_DEP_2)
	v_or_b32_e32 v13, v16, v13
	v_xor_b32_e32 v16, 4, v25
	s_wait_dscnt 0x1
	v_cmp_gt_f64_e64 s1, v[0:1], v[12:13]
	s_delay_alu instid0(VALU_DEP_2) | instskip(SKIP_1) | instid1(VALU_DEP_1)
	v_cmp_gt_i32_e64 s2, 32, v16
	s_wait_alu 0xf1ff
	v_cndmask_b32_e64 v16, v25, v16, s2
	s_wait_dscnt 0x0
	v_and_b32_e32 v19, 0xff, v17
	v_and_b32_e32 v17, 0xffffff00, v17
	s_delay_alu instid0(VALU_DEP_3) | instskip(NEXT) | instid1(VALU_DEP_2)
	v_lshlrev_b32_e32 v16, 2, v16
	v_or_b32_e32 v17, v19, v17
	v_cndmask_b32_e64 v1, v1, v13, s1
	v_cndmask_b32_e64 v0, v0, v12, s1
	ds_bpermute_b32 v13, v16, v1
	ds_bpermute_b32 v12, v16, v0
	s_wait_dscnt 0x1
	v_and_b32_e32 v18, 0xff, v13
	v_and_b32_e32 v13, 0xffffff00, v13
	s_delay_alu instid0(VALU_DEP_1) | instskip(SKIP_2) | instid1(VALU_DEP_2)
	v_or_b32_e32 v13, v18, v13
	v_xor_b32_e32 v18, 8, v25
	s_wait_dscnt 0x0
	v_cmp_gt_f64_e64 s2, v[0:1], v[12:13]
	s_delay_alu instid0(VALU_DEP_2) | instskip(SKIP_1) | instid1(VALU_DEP_1)
	v_cmp_gt_i32_e64 s3, 32, v18
	s_wait_alu 0xf1ff
	v_cndmask_b32_e64 v18, v25, v18, s3
	s_delay_alu instid0(VALU_DEP_1) | instskip(NEXT) | instid1(VALU_DEP_4)
	v_lshlrev_b32_e32 v18, 2, v18
	v_cndmask_b32_e64 v1, v1, v13, s2
	v_cndmask_b32_e64 v13, v3, v17, s1
	ds_bpermute_b32 v3, v15, v14
	v_cndmask_b32_e64 v0, v0, v12, s2
	ds_bpermute_b32 v15, v18, v1
	ds_bpermute_b32 v17, v16, v13
	;; [unrolled: 1-line block ×3, first 2 shown]
	s_wait_dscnt 0x3
	v_cndmask_b32_e64 v12, v14, v3, s1
	s_wait_dscnt 0x2
	v_and_b32_e32 v3, 0xff, v15
	v_and_b32_e32 v14, 0xffffff00, v15
	s_wait_dscnt 0x1
	v_and_b32_e32 v15, 0xff, v17
	v_and_b32_e32 v17, 0xffffff00, v17
	ds_bpermute_b32 v16, v16, v12
	v_or_b32_e32 v3, v3, v14
	v_or_b32_e32 v14, v15, v17
	s_wait_dscnt 0x1
	s_delay_alu instid0(VALU_DEP_2) | instskip(NEXT) | instid1(VALU_DEP_2)
	v_cmp_gt_f64_e32 vcc_lo, v[0:1], v[2:3]
	v_cndmask_b32_e64 v13, v13, v14, s2
	ds_bpermute_b32 v14, v18, v13
	s_wait_dscnt 0x1
	v_cndmask_b32_e64 v12, v12, v16, s2
	ds_bpermute_b32 v18, v18, v12
	s_wait_dscnt 0x1
	v_and_b32_e32 v15, 0xff, v14
	v_and_b32_e32 v14, 0xffffff00, v14
	s_delay_alu instid0(VALU_DEP_1) | instskip(SKIP_2) | instid1(VALU_DEP_2)
	v_or_b32_e32 v14, v15, v14
	s_wait_alu 0xfffd
	v_dual_cndmask_b32 v17, v1, v3 :: v_dual_cndmask_b32 v16, v0, v2
	v_cndmask_b32_e32 v15, v13, v14, vcc_lo
	s_wait_dscnt 0x0
	v_cndmask_b32_e32 v14, v12, v18, vcc_lo
.LBB1_57:
	s_wait_alu 0xfffe
	s_or_b32 exec_lo, exec_lo, s4
	s_wait_loadcnt 0x0
	s_barrier_signal -1
	s_barrier_wait -1
	global_inv scope:SCOPE_SE
.LBB1_58:
	v_mov_b32_e32 v0, 0
	v_cndmask_b32_e64 v1, v5, v17, s0
	v_cndmask_b32_e64 v3, v7, v15, s0
	;; [unrolled: 1-line block ×3, first 2 shown]
	ds_load_u8 v0, v0 offset:256
	s_wait_dscnt 0x0
	v_and_b32_e32 v12, 1, v0
	v_cndmask_b32_e64 v0, v4, v16, s0
	s_delay_alu instid0(VALU_DEP_2)
	v_cmp_eq_u32_e64 s1, 1, v12
.LBB1_59:
	s_wait_alu 0xfffe
	s_delay_alu instid0(VALU_DEP_1)
	s_and_b32 s1, s0, s1
	s_wait_alu 0xfffe
	v_cndmask_b32_e64 v12, 32, s16, s1
	s_branch .LBB1_64
.LBB1_60:
                                        ; implicit-def: $vgpr12
                                        ; implicit-def: $vgpr2_vgpr3
	s_cbranch_execz .LBB1_64
; %bb.61:
	v_mov_b32_e32 v12, 32
	s_and_saveexec_b32 s1, s0
; %bb.62:
	v_mov_b32_e32 v6, v8
	v_mov_b32_e32 v4, v10
	v_dual_mov_b32 v12, s16 :: v_dual_mov_b32 v7, v9
	v_mov_b32_e32 v5, v11
; %bb.63:
	s_wait_alu 0xfffe
	s_or_b32 exec_lo, exec_lo, s1
	s_delay_alu instid0(VALU_DEP_1)
	v_dual_mov_b32 v0, v4 :: v_dual_mov_b32 v1, v5
	s_wait_dscnt 0x0
	v_dual_mov_b32 v2, v6 :: v_dual_mov_b32 v3, v7
.LBB1_64:
	s_mov_b32 s0, exec_lo
	s_delay_alu instid0(VALU_DEP_1)
	v_cmpx_ne_u32_e32 32, v12
	s_cbranch_execz .LBB1_3
; %bb.65:
	v_ashrrev_i32_e32 v13, 31, v12
	s_delay_alu instid0(VALU_DEP_1) | instskip(NEXT) | instid1(VALU_DEP_1)
	v_lshlrev_b64_e32 v[4:5], 4, v[12:13]
	v_add_co_u32 v4, vcc_lo, s6, v4
	s_wait_alu 0xfffd
	s_delay_alu instid0(VALU_DEP_2)
	v_add_co_ci_u32_e64 v5, null, s7, v5, vcc_lo
	s_wait_dscnt 0x0
	flat_store_b128 v[4:5], v[0:3]
	s_endpgm
.LBB1_66:
                                        ; implicit-def: $vgpr10_vgpr11
                                        ; implicit-def: $vgpr8_vgpr9
	v_mbcnt_lo_u32_b32 v25, -1, 0
	s_wait_alu 0xfffe
	s_and_b32 vcc_lo, exec_lo, s0
	s_wait_alu 0xfffe
	s_cbranch_vccnz .LBB1_18
	s_branch .LBB1_19
.LBB1_67:
                                        ; implicit-def: $vgpr16_vgpr17
                                        ; implicit-def: $vgpr14_vgpr15
	s_cbranch_execnz .LBB1_49
	s_branch .LBB1_50
	.section	.rodata,"a",@progbits
	.p2align	6, 0x0
	.amdhsa_kernel _ZN4RAJA6policy3hip4impl18forallp_hip_kernelINS1_8hip_execINS_17iteration_mapping6DirectENS_3hip11IndexGlobalILNS_9named_dimE0ELi256ELi0EEENS7_40AvoidDeviceMaxThreadOccupancyConcretizerINS7_34FractionOffsetOccupancyConcretizerINS_8FractionImLm1ELm1EEELln1EEEEELb1EEENS_9Iterators16numeric_iteratorIllPlEEZN8rajaperf5lcals9FIRST_MIN17runHipVariantRAJAILm256ENSM_11gpu_mapping20global_direct_helperEEEvNSM_9VariantIDEEUllE_lNS_4expt15ForallParamPackIJEEES6_SA_TnNSt9enable_ifIXaasr3std10is_base_ofINS5_10DirectBaseET4_EE5valuegtsrT5_10block_sizeLi0EEmE4typeELm256EEEvT1_T0_T2_T3_
		.amdhsa_group_segment_fixed_size 257
		.amdhsa_private_segment_fixed_size 0
		.amdhsa_kernarg_size 368
		.amdhsa_user_sgpr_count 2
		.amdhsa_user_sgpr_dispatch_ptr 0
		.amdhsa_user_sgpr_queue_ptr 0
		.amdhsa_user_sgpr_kernarg_segment_ptr 1
		.amdhsa_user_sgpr_dispatch_id 0
		.amdhsa_user_sgpr_private_segment_size 0
		.amdhsa_wavefront_size32 1
		.amdhsa_uses_dynamic_stack 0
		.amdhsa_enable_private_segment 0
		.amdhsa_system_sgpr_workgroup_id_x 1
		.amdhsa_system_sgpr_workgroup_id_y 1
		.amdhsa_system_sgpr_workgroup_id_z 1
		.amdhsa_system_sgpr_workgroup_info 0
		.amdhsa_system_vgpr_workitem_id 2
		.amdhsa_next_free_vgpr 30
		.amdhsa_next_free_sgpr 30
		.amdhsa_reserve_vcc 1
		.amdhsa_float_round_mode_32 0
		.amdhsa_float_round_mode_16_64 0
		.amdhsa_float_denorm_mode_32 3
		.amdhsa_float_denorm_mode_16_64 3
		.amdhsa_fp16_overflow 0
		.amdhsa_workgroup_processor_mode 1
		.amdhsa_memory_ordered 1
		.amdhsa_forward_progress 1
		.amdhsa_inst_pref_size 56
		.amdhsa_round_robin_scheduling 0
		.amdhsa_exception_fp_ieee_invalid_op 0
		.amdhsa_exception_fp_denorm_src 0
		.amdhsa_exception_fp_ieee_div_zero 0
		.amdhsa_exception_fp_ieee_overflow 0
		.amdhsa_exception_fp_ieee_underflow 0
		.amdhsa_exception_fp_ieee_inexact 0
		.amdhsa_exception_int_div_zero 0
	.end_amdhsa_kernel
	.section	.text._ZN4RAJA6policy3hip4impl18forallp_hip_kernelINS1_8hip_execINS_17iteration_mapping6DirectENS_3hip11IndexGlobalILNS_9named_dimE0ELi256ELi0EEENS7_40AvoidDeviceMaxThreadOccupancyConcretizerINS7_34FractionOffsetOccupancyConcretizerINS_8FractionImLm1ELm1EEELln1EEEEELb1EEENS_9Iterators16numeric_iteratorIllPlEEZN8rajaperf5lcals9FIRST_MIN17runHipVariantRAJAILm256ENSM_11gpu_mapping20global_direct_helperEEEvNSM_9VariantIDEEUllE_lNS_4expt15ForallParamPackIJEEES6_SA_TnNSt9enable_ifIXaasr3std10is_base_ofINS5_10DirectBaseET4_EE5valuegtsrT5_10block_sizeLi0EEmE4typeELm256EEEvT1_T0_T2_T3_,"axG",@progbits,_ZN4RAJA6policy3hip4impl18forallp_hip_kernelINS1_8hip_execINS_17iteration_mapping6DirectENS_3hip11IndexGlobalILNS_9named_dimE0ELi256ELi0EEENS7_40AvoidDeviceMaxThreadOccupancyConcretizerINS7_34FractionOffsetOccupancyConcretizerINS_8FractionImLm1ELm1EEELln1EEEEELb1EEENS_9Iterators16numeric_iteratorIllPlEEZN8rajaperf5lcals9FIRST_MIN17runHipVariantRAJAILm256ENSM_11gpu_mapping20global_direct_helperEEEvNSM_9VariantIDEEUllE_lNS_4expt15ForallParamPackIJEEES6_SA_TnNSt9enable_ifIXaasr3std10is_base_ofINS5_10DirectBaseET4_EE5valuegtsrT5_10block_sizeLi0EEmE4typeELm256EEEvT1_T0_T2_T3_,comdat
.Lfunc_end1:
	.size	_ZN4RAJA6policy3hip4impl18forallp_hip_kernelINS1_8hip_execINS_17iteration_mapping6DirectENS_3hip11IndexGlobalILNS_9named_dimE0ELi256ELi0EEENS7_40AvoidDeviceMaxThreadOccupancyConcretizerINS7_34FractionOffsetOccupancyConcretizerINS_8FractionImLm1ELm1EEELln1EEEEELb1EEENS_9Iterators16numeric_iteratorIllPlEEZN8rajaperf5lcals9FIRST_MIN17runHipVariantRAJAILm256ENSM_11gpu_mapping20global_direct_helperEEEvNSM_9VariantIDEEUllE_lNS_4expt15ForallParamPackIJEEES6_SA_TnNSt9enable_ifIXaasr3std10is_base_ofINS5_10DirectBaseET4_EE5valuegtsrT5_10block_sizeLi0EEmE4typeELm256EEEvT1_T0_T2_T3_, .Lfunc_end1-_ZN4RAJA6policy3hip4impl18forallp_hip_kernelINS1_8hip_execINS_17iteration_mapping6DirectENS_3hip11IndexGlobalILNS_9named_dimE0ELi256ELi0EEENS7_40AvoidDeviceMaxThreadOccupancyConcretizerINS7_34FractionOffsetOccupancyConcretizerINS_8FractionImLm1ELm1EEELln1EEEEELb1EEENS_9Iterators16numeric_iteratorIllPlEEZN8rajaperf5lcals9FIRST_MIN17runHipVariantRAJAILm256ENSM_11gpu_mapping20global_direct_helperEEEvNSM_9VariantIDEEUllE_lNS_4expt15ForallParamPackIJEEES6_SA_TnNSt9enable_ifIXaasr3std10is_base_ofINS5_10DirectBaseET4_EE5valuegtsrT5_10block_sizeLi0EEmE4typeELm256EEEvT1_T0_T2_T3_
                                        ; -- End function
	.set _ZN4RAJA6policy3hip4impl18forallp_hip_kernelINS1_8hip_execINS_17iteration_mapping6DirectENS_3hip11IndexGlobalILNS_9named_dimE0ELi256ELi0EEENS7_40AvoidDeviceMaxThreadOccupancyConcretizerINS7_34FractionOffsetOccupancyConcretizerINS_8FractionImLm1ELm1EEELln1EEEEELb1EEENS_9Iterators16numeric_iteratorIllPlEEZN8rajaperf5lcals9FIRST_MIN17runHipVariantRAJAILm256ENSM_11gpu_mapping20global_direct_helperEEEvNSM_9VariantIDEEUllE_lNS_4expt15ForallParamPackIJEEES6_SA_TnNSt9enable_ifIXaasr3std10is_base_ofINS5_10DirectBaseET4_EE5valuegtsrT5_10block_sizeLi0EEmE4typeELm256EEEvT1_T0_T2_T3_.num_vgpr, 30
	.set _ZN4RAJA6policy3hip4impl18forallp_hip_kernelINS1_8hip_execINS_17iteration_mapping6DirectENS_3hip11IndexGlobalILNS_9named_dimE0ELi256ELi0EEENS7_40AvoidDeviceMaxThreadOccupancyConcretizerINS7_34FractionOffsetOccupancyConcretizerINS_8FractionImLm1ELm1EEELln1EEEEELb1EEENS_9Iterators16numeric_iteratorIllPlEEZN8rajaperf5lcals9FIRST_MIN17runHipVariantRAJAILm256ENSM_11gpu_mapping20global_direct_helperEEEvNSM_9VariantIDEEUllE_lNS_4expt15ForallParamPackIJEEES6_SA_TnNSt9enable_ifIXaasr3std10is_base_ofINS5_10DirectBaseET4_EE5valuegtsrT5_10block_sizeLi0EEmE4typeELm256EEEvT1_T0_T2_T3_.num_agpr, 0
	.set _ZN4RAJA6policy3hip4impl18forallp_hip_kernelINS1_8hip_execINS_17iteration_mapping6DirectENS_3hip11IndexGlobalILNS_9named_dimE0ELi256ELi0EEENS7_40AvoidDeviceMaxThreadOccupancyConcretizerINS7_34FractionOffsetOccupancyConcretizerINS_8FractionImLm1ELm1EEELln1EEEEELb1EEENS_9Iterators16numeric_iteratorIllPlEEZN8rajaperf5lcals9FIRST_MIN17runHipVariantRAJAILm256ENSM_11gpu_mapping20global_direct_helperEEEvNSM_9VariantIDEEUllE_lNS_4expt15ForallParamPackIJEEES6_SA_TnNSt9enable_ifIXaasr3std10is_base_ofINS5_10DirectBaseET4_EE5valuegtsrT5_10block_sizeLi0EEmE4typeELm256EEEvT1_T0_T2_T3_.numbered_sgpr, 30
	.set _ZN4RAJA6policy3hip4impl18forallp_hip_kernelINS1_8hip_execINS_17iteration_mapping6DirectENS_3hip11IndexGlobalILNS_9named_dimE0ELi256ELi0EEENS7_40AvoidDeviceMaxThreadOccupancyConcretizerINS7_34FractionOffsetOccupancyConcretizerINS_8FractionImLm1ELm1EEELln1EEEEELb1EEENS_9Iterators16numeric_iteratorIllPlEEZN8rajaperf5lcals9FIRST_MIN17runHipVariantRAJAILm256ENSM_11gpu_mapping20global_direct_helperEEEvNSM_9VariantIDEEUllE_lNS_4expt15ForallParamPackIJEEES6_SA_TnNSt9enable_ifIXaasr3std10is_base_ofINS5_10DirectBaseET4_EE5valuegtsrT5_10block_sizeLi0EEmE4typeELm256EEEvT1_T0_T2_T3_.num_named_barrier, 0
	.set _ZN4RAJA6policy3hip4impl18forallp_hip_kernelINS1_8hip_execINS_17iteration_mapping6DirectENS_3hip11IndexGlobalILNS_9named_dimE0ELi256ELi0EEENS7_40AvoidDeviceMaxThreadOccupancyConcretizerINS7_34FractionOffsetOccupancyConcretizerINS_8FractionImLm1ELm1EEELln1EEEEELb1EEENS_9Iterators16numeric_iteratorIllPlEEZN8rajaperf5lcals9FIRST_MIN17runHipVariantRAJAILm256ENSM_11gpu_mapping20global_direct_helperEEEvNSM_9VariantIDEEUllE_lNS_4expt15ForallParamPackIJEEES6_SA_TnNSt9enable_ifIXaasr3std10is_base_ofINS5_10DirectBaseET4_EE5valuegtsrT5_10block_sizeLi0EEmE4typeELm256EEEvT1_T0_T2_T3_.private_seg_size, 0
	.set _ZN4RAJA6policy3hip4impl18forallp_hip_kernelINS1_8hip_execINS_17iteration_mapping6DirectENS_3hip11IndexGlobalILNS_9named_dimE0ELi256ELi0EEENS7_40AvoidDeviceMaxThreadOccupancyConcretizerINS7_34FractionOffsetOccupancyConcretizerINS_8FractionImLm1ELm1EEELln1EEEEELb1EEENS_9Iterators16numeric_iteratorIllPlEEZN8rajaperf5lcals9FIRST_MIN17runHipVariantRAJAILm256ENSM_11gpu_mapping20global_direct_helperEEEvNSM_9VariantIDEEUllE_lNS_4expt15ForallParamPackIJEEES6_SA_TnNSt9enable_ifIXaasr3std10is_base_ofINS5_10DirectBaseET4_EE5valuegtsrT5_10block_sizeLi0EEmE4typeELm256EEEvT1_T0_T2_T3_.uses_vcc, 1
	.set _ZN4RAJA6policy3hip4impl18forallp_hip_kernelINS1_8hip_execINS_17iteration_mapping6DirectENS_3hip11IndexGlobalILNS_9named_dimE0ELi256ELi0EEENS7_40AvoidDeviceMaxThreadOccupancyConcretizerINS7_34FractionOffsetOccupancyConcretizerINS_8FractionImLm1ELm1EEELln1EEEEELb1EEENS_9Iterators16numeric_iteratorIllPlEEZN8rajaperf5lcals9FIRST_MIN17runHipVariantRAJAILm256ENSM_11gpu_mapping20global_direct_helperEEEvNSM_9VariantIDEEUllE_lNS_4expt15ForallParamPackIJEEES6_SA_TnNSt9enable_ifIXaasr3std10is_base_ofINS5_10DirectBaseET4_EE5valuegtsrT5_10block_sizeLi0EEmE4typeELm256EEEvT1_T0_T2_T3_.uses_flat_scratch, 0
	.set _ZN4RAJA6policy3hip4impl18forallp_hip_kernelINS1_8hip_execINS_17iteration_mapping6DirectENS_3hip11IndexGlobalILNS_9named_dimE0ELi256ELi0EEENS7_40AvoidDeviceMaxThreadOccupancyConcretizerINS7_34FractionOffsetOccupancyConcretizerINS_8FractionImLm1ELm1EEELln1EEEEELb1EEENS_9Iterators16numeric_iteratorIllPlEEZN8rajaperf5lcals9FIRST_MIN17runHipVariantRAJAILm256ENSM_11gpu_mapping20global_direct_helperEEEvNSM_9VariantIDEEUllE_lNS_4expt15ForallParamPackIJEEES6_SA_TnNSt9enable_ifIXaasr3std10is_base_ofINS5_10DirectBaseET4_EE5valuegtsrT5_10block_sizeLi0EEmE4typeELm256EEEvT1_T0_T2_T3_.has_dyn_sized_stack, 0
	.set _ZN4RAJA6policy3hip4impl18forallp_hip_kernelINS1_8hip_execINS_17iteration_mapping6DirectENS_3hip11IndexGlobalILNS_9named_dimE0ELi256ELi0EEENS7_40AvoidDeviceMaxThreadOccupancyConcretizerINS7_34FractionOffsetOccupancyConcretizerINS_8FractionImLm1ELm1EEELln1EEEEELb1EEENS_9Iterators16numeric_iteratorIllPlEEZN8rajaperf5lcals9FIRST_MIN17runHipVariantRAJAILm256ENSM_11gpu_mapping20global_direct_helperEEEvNSM_9VariantIDEEUllE_lNS_4expt15ForallParamPackIJEEES6_SA_TnNSt9enable_ifIXaasr3std10is_base_ofINS5_10DirectBaseET4_EE5valuegtsrT5_10block_sizeLi0EEmE4typeELm256EEEvT1_T0_T2_T3_.has_recursion, 0
	.set _ZN4RAJA6policy3hip4impl18forallp_hip_kernelINS1_8hip_execINS_17iteration_mapping6DirectENS_3hip11IndexGlobalILNS_9named_dimE0ELi256ELi0EEENS7_40AvoidDeviceMaxThreadOccupancyConcretizerINS7_34FractionOffsetOccupancyConcretizerINS_8FractionImLm1ELm1EEELln1EEEEELb1EEENS_9Iterators16numeric_iteratorIllPlEEZN8rajaperf5lcals9FIRST_MIN17runHipVariantRAJAILm256ENSM_11gpu_mapping20global_direct_helperEEEvNSM_9VariantIDEEUllE_lNS_4expt15ForallParamPackIJEEES6_SA_TnNSt9enable_ifIXaasr3std10is_base_ofINS5_10DirectBaseET4_EE5valuegtsrT5_10block_sizeLi0EEmE4typeELm256EEEvT1_T0_T2_T3_.has_indirect_call, 0
	.section	.AMDGPU.csdata,"",@progbits
; Kernel info:
; codeLenInByte = 7120
; TotalNumSgprs: 32
; NumVgprs: 30
; ScratchSize: 0
; MemoryBound: 0
; FloatMode: 240
; IeeeMode: 1
; LDSByteSize: 257 bytes/workgroup (compile time only)
; SGPRBlocks: 0
; VGPRBlocks: 3
; NumSGPRsForWavesPerEU: 32
; NumVGPRsForWavesPerEU: 30
; Occupancy: 16
; WaveLimiterHint : 1
; COMPUTE_PGM_RSRC2:SCRATCH_EN: 0
; COMPUTE_PGM_RSRC2:USER_SGPR: 2
; COMPUTE_PGM_RSRC2:TRAP_HANDLER: 0
; COMPUTE_PGM_RSRC2:TGID_X_EN: 1
; COMPUTE_PGM_RSRC2:TGID_Y_EN: 1
; COMPUTE_PGM_RSRC2:TGID_Z_EN: 1
; COMPUTE_PGM_RSRC2:TIDIG_COMP_CNT: 2
	.section	.text._ZN4RAJA6policy3hip4impl18forallp_hip_kernelINS1_8hip_execINS_17iteration_mapping6DirectENS_3hip11IndexGlobalILNS_9named_dimE0ELi256ELi0EEENS7_40AvoidDeviceMaxThreadOccupancyConcretizerINS7_34FractionOffsetOccupancyConcretizerINS_8FractionImLm1ELm1EEELln1EEEEELb1EEENS_9Iterators16numeric_iteratorIllPlEEZN8rajaperf5lcals9FIRST_MIN26runHipVariantRAJANewReduceILm256ENSM_11gpu_mapping20global_direct_helperEEEvNSM_9VariantIDEEUllRNS_4expt5ValOpINST_6ValLocIdlEENS_9operators7minimumEEEE_lNST_15ForallParamPackIJNST_6detail7ReducerINSY_ISW_SW_SW_EESW_SZ_EEEEES6_SA_TnNSt9enable_ifIXaasr3std10is_base_ofINS5_10DirectBaseET4_EE5valuegtsrT5_10block_sizeLi0EEmE4typeELm256EEEvT1_T0_T2_T3_,"axG",@progbits,_ZN4RAJA6policy3hip4impl18forallp_hip_kernelINS1_8hip_execINS_17iteration_mapping6DirectENS_3hip11IndexGlobalILNS_9named_dimE0ELi256ELi0EEENS7_40AvoidDeviceMaxThreadOccupancyConcretizerINS7_34FractionOffsetOccupancyConcretizerINS_8FractionImLm1ELm1EEELln1EEEEELb1EEENS_9Iterators16numeric_iteratorIllPlEEZN8rajaperf5lcals9FIRST_MIN26runHipVariantRAJANewReduceILm256ENSM_11gpu_mapping20global_direct_helperEEEvNSM_9VariantIDEEUllRNS_4expt5ValOpINST_6ValLocIdlEENS_9operators7minimumEEEE_lNST_15ForallParamPackIJNST_6detail7ReducerINSY_ISW_SW_SW_EESW_SZ_EEEEES6_SA_TnNSt9enable_ifIXaasr3std10is_base_ofINS5_10DirectBaseET4_EE5valuegtsrT5_10block_sizeLi0EEmE4typeELm256EEEvT1_T0_T2_T3_,comdat
	.protected	_ZN4RAJA6policy3hip4impl18forallp_hip_kernelINS1_8hip_execINS_17iteration_mapping6DirectENS_3hip11IndexGlobalILNS_9named_dimE0ELi256ELi0EEENS7_40AvoidDeviceMaxThreadOccupancyConcretizerINS7_34FractionOffsetOccupancyConcretizerINS_8FractionImLm1ELm1EEELln1EEEEELb1EEENS_9Iterators16numeric_iteratorIllPlEEZN8rajaperf5lcals9FIRST_MIN26runHipVariantRAJANewReduceILm256ENSM_11gpu_mapping20global_direct_helperEEEvNSM_9VariantIDEEUllRNS_4expt5ValOpINST_6ValLocIdlEENS_9operators7minimumEEEE_lNST_15ForallParamPackIJNST_6detail7ReducerINSY_ISW_SW_SW_EESW_SZ_EEEEES6_SA_TnNSt9enable_ifIXaasr3std10is_base_ofINS5_10DirectBaseET4_EE5valuegtsrT5_10block_sizeLi0EEmE4typeELm256EEEvT1_T0_T2_T3_ ; -- Begin function _ZN4RAJA6policy3hip4impl18forallp_hip_kernelINS1_8hip_execINS_17iteration_mapping6DirectENS_3hip11IndexGlobalILNS_9named_dimE0ELi256ELi0EEENS7_40AvoidDeviceMaxThreadOccupancyConcretizerINS7_34FractionOffsetOccupancyConcretizerINS_8FractionImLm1ELm1EEELln1EEEEELb1EEENS_9Iterators16numeric_iteratorIllPlEEZN8rajaperf5lcals9FIRST_MIN26runHipVariantRAJANewReduceILm256ENSM_11gpu_mapping20global_direct_helperEEEvNSM_9VariantIDEEUllRNS_4expt5ValOpINST_6ValLocIdlEENS_9operators7minimumEEEE_lNST_15ForallParamPackIJNST_6detail7ReducerINSY_ISW_SW_SW_EESW_SZ_EEEEES6_SA_TnNSt9enable_ifIXaasr3std10is_base_ofINS5_10DirectBaseET4_EE5valuegtsrT5_10block_sizeLi0EEmE4typeELm256EEEvT1_T0_T2_T3_
	.globl	_ZN4RAJA6policy3hip4impl18forallp_hip_kernelINS1_8hip_execINS_17iteration_mapping6DirectENS_3hip11IndexGlobalILNS_9named_dimE0ELi256ELi0EEENS7_40AvoidDeviceMaxThreadOccupancyConcretizerINS7_34FractionOffsetOccupancyConcretizerINS_8FractionImLm1ELm1EEELln1EEEEELb1EEENS_9Iterators16numeric_iteratorIllPlEEZN8rajaperf5lcals9FIRST_MIN26runHipVariantRAJANewReduceILm256ENSM_11gpu_mapping20global_direct_helperEEEvNSM_9VariantIDEEUllRNS_4expt5ValOpINST_6ValLocIdlEENS_9operators7minimumEEEE_lNST_15ForallParamPackIJNST_6detail7ReducerINSY_ISW_SW_SW_EESW_SZ_EEEEES6_SA_TnNSt9enable_ifIXaasr3std10is_base_ofINS5_10DirectBaseET4_EE5valuegtsrT5_10block_sizeLi0EEmE4typeELm256EEEvT1_T0_T2_T3_
	.p2align	8
	.type	_ZN4RAJA6policy3hip4impl18forallp_hip_kernelINS1_8hip_execINS_17iteration_mapping6DirectENS_3hip11IndexGlobalILNS_9named_dimE0ELi256ELi0EEENS7_40AvoidDeviceMaxThreadOccupancyConcretizerINS7_34FractionOffsetOccupancyConcretizerINS_8FractionImLm1ELm1EEELln1EEEEELb1EEENS_9Iterators16numeric_iteratorIllPlEEZN8rajaperf5lcals9FIRST_MIN26runHipVariantRAJANewReduceILm256ENSM_11gpu_mapping20global_direct_helperEEEvNSM_9VariantIDEEUllRNS_4expt5ValOpINST_6ValLocIdlEENS_9operators7minimumEEEE_lNST_15ForallParamPackIJNST_6detail7ReducerINSY_ISW_SW_SW_EESW_SZ_EEEEES6_SA_TnNSt9enable_ifIXaasr3std10is_base_ofINS5_10DirectBaseET4_EE5valuegtsrT5_10block_sizeLi0EEmE4typeELm256EEEvT1_T0_T2_T3_,@function
_ZN4RAJA6policy3hip4impl18forallp_hip_kernelINS1_8hip_execINS_17iteration_mapping6DirectENS_3hip11IndexGlobalILNS_9named_dimE0ELi256ELi0EEENS7_40AvoidDeviceMaxThreadOccupancyConcretizerINS7_34FractionOffsetOccupancyConcretizerINS_8FractionImLm1ELm1EEELln1EEEEELb1EEENS_9Iterators16numeric_iteratorIllPlEEZN8rajaperf5lcals9FIRST_MIN26runHipVariantRAJANewReduceILm256ENSM_11gpu_mapping20global_direct_helperEEEvNSM_9VariantIDEEUllRNS_4expt5ValOpINST_6ValLocIdlEENS_9operators7minimumEEEE_lNST_15ForallParamPackIJNST_6detail7ReducerINSY_ISW_SW_SW_EESW_SZ_EEEEES6_SA_TnNSt9enable_ifIXaasr3std10is_base_ofINS5_10DirectBaseET4_EE5valuegtsrT5_10block_sizeLi0EEmE4typeELm256EEEvT1_T0_T2_T3_: ; @_ZN4RAJA6policy3hip4impl18forallp_hip_kernelINS1_8hip_execINS_17iteration_mapping6DirectENS_3hip11IndexGlobalILNS_9named_dimE0ELi256ELi0EEENS7_40AvoidDeviceMaxThreadOccupancyConcretizerINS7_34FractionOffsetOccupancyConcretizerINS_8FractionImLm1ELm1EEELln1EEEEELb1EEENS_9Iterators16numeric_iteratorIllPlEEZN8rajaperf5lcals9FIRST_MIN26runHipVariantRAJANewReduceILm256ENSM_11gpu_mapping20global_direct_helperEEEvNSM_9VariantIDEEUllRNS_4expt5ValOpINST_6ValLocIdlEENS_9operators7minimumEEEE_lNST_15ForallParamPackIJNST_6detail7ReducerINSY_ISW_SW_SW_EESW_SZ_EEEEES6_SA_TnNSt9enable_ifIXaasr3std10is_base_ofINS5_10DirectBaseET4_EE5valuegtsrT5_10block_sizeLi0EEmE4typeELm256EEEvT1_T0_T2_T3_
; %bb.0:
	s_clause 0x1
	s_load_b256 s[4:11], s[0:1], 0x0
	s_load_b64 s[2:3], s[0:1], 0x20
	v_and_b32_e32 v5, 0x3ff, v0
	s_mov_b32 s12, ttmp9
	s_mov_b32 s13, 0
	s_delay_alu instid0(SALU_CYCLE_1) | instskip(NEXT) | instid1(SALU_CYCLE_1)
	s_lshl_b64 s[12:13], s[12:13], 8
	v_mov_b32_e32 v7, s13
	s_wait_kmcnt 0x0
	v_dual_mov_b32 v3, s10 :: v_dual_mov_b32 v4, s11
	v_or_b32_e32 v6, s12, v5
	v_dual_mov_b32 v1, s2 :: v_dual_mov_b32 v2, s3
	s_delay_alu instid0(VALU_DEP_2)
	v_cmp_gt_i64_e32 vcc_lo, s[8:9], v[6:7]
	s_and_saveexec_b32 s8, vcc_lo
	s_cbranch_execz .LBB2_2
; %bb.1:
	v_add_co_u32 v1, vcc_lo, v6, s6
	s_delay_alu instid0(VALU_DEP_1) | instskip(NEXT) | instid1(VALU_DEP_1)
	v_add_co_ci_u32_e64 v2, null, s7, v7, vcc_lo
	v_lshlrev_b64_e32 v[3:4], 3, v[1:2]
	s_delay_alu instid0(VALU_DEP_1) | instskip(SKIP_1) | instid1(VALU_DEP_2)
	v_add_co_u32 v3, vcc_lo, s4, v3
	s_wait_alu 0xfffd
	v_add_co_ci_u32_e64 v4, null, s5, v4, vcc_lo
	global_load_b64 v[3:4], v[3:4], off
	s_wait_loadcnt 0x0
	v_cmp_gt_f64_e32 vcc_lo, s[10:11], v[3:4]
	s_wait_alu 0xfffd
	v_cndmask_b32_e32 v4, s11, v4, vcc_lo
	v_cndmask_b32_e32 v3, s10, v3, vcc_lo
	;; [unrolled: 1-line block ×4, first 2 shown]
.LBB2_2:
	s_wait_alu 0xfffe
	s_or_b32 exec_lo, exec_lo, s8
	v_mbcnt_lo_u32_b32 v6, -1, 0
	s_delay_alu instid0(VALU_DEP_1) | instskip(SKIP_3) | instid1(VALU_DEP_4)
	v_xor_b32_e32 v7, 1, v6
	v_xor_b32_e32 v9, 2, v6
	;; [unrolled: 1-line block ×3, first 2 shown]
	v_or_b32_e32 v16, 32, v6
	v_cmp_gt_i32_e32 vcc_lo, 32, v7
	s_delay_alu instid0(VALU_DEP_4) | instskip(NEXT) | instid1(VALU_DEP_4)
	v_cmp_gt_i32_e64 s2, 32, v9
	v_cmp_gt_i32_e64 s5, 32, v15
	s_wait_alu 0xfffd
	v_cndmask_b32_e32 v7, v6, v7, vcc_lo
	s_wait_alu 0xf1ff
	v_cndmask_b32_e64 v9, v6, v9, s2
	v_cndmask_b32_e64 v15, v6, v15, s5
	s_delay_alu instid0(VALU_DEP_3) | instskip(NEXT) | instid1(VALU_DEP_2)
	v_lshlrev_b32_e32 v10, 2, v7
	v_lshlrev_b32_e32 v15, 2, v15
	ds_bpermute_b32 v7, v10, v3
	ds_bpermute_b32 v8, v10, v4
	s_wait_dscnt 0x0
	v_cmp_gt_f64_e32 vcc_lo, v[3:4], v[7:8]
	v_lshlrev_b32_e32 v11, 2, v9
	v_xor_b32_e32 v9, 4, v6
	s_delay_alu instid0(VALU_DEP_1) | instskip(SKIP_1) | instid1(VALU_DEP_1)
	v_cmp_gt_i32_e64 s3, 32, v9
	s_wait_alu 0xf1ff
	v_cndmask_b32_e64 v9, v6, v9, s3
	s_delay_alu instid0(VALU_DEP_1) | instskip(SKIP_1) | instid1(VALU_DEP_1)
	v_lshlrev_b32_e32 v12, 2, v9
	v_xor_b32_e32 v9, 8, v6
	v_cmp_gt_i32_e64 s4, 32, v9
	s_wait_alu 0xf1ff
	s_delay_alu instid0(VALU_DEP_1) | instskip(NEXT) | instid1(VALU_DEP_1)
	v_cndmask_b32_e64 v9, v6, v9, s4
	v_lshlrev_b32_e32 v13, 2, v9
	ds_bpermute_b32 v9, v10, v2
	s_wait_alu 0xfffd
	v_dual_cndmask_b32 v4, v4, v8 :: v_dual_cndmask_b32 v3, v3, v7
	ds_bpermute_b32 v8, v11, v4
	ds_bpermute_b32 v7, v11, v3
	s_wait_dscnt 0x0
	v_cmp_gt_f64_e64 s2, v[3:4], v[7:8]
	s_wait_alu 0xf1ff
	s_delay_alu instid0(VALU_DEP_1)
	v_cndmask_b32_e64 v4, v4, v8, s2
	v_cndmask_b32_e64 v3, v3, v7, s2
	ds_bpermute_b32 v8, v12, v4
	ds_bpermute_b32 v7, v12, v3
	s_wait_dscnt 0x0
	v_cmp_gt_f64_e64 s3, v[3:4], v[7:8]
	s_wait_alu 0xf1ff
	s_delay_alu instid0(VALU_DEP_1)
	v_cndmask_b32_e64 v4, v4, v8, s3
	v_cndmask_b32_e64 v3, v3, v7, s3
	ds_bpermute_b32 v8, v13, v4
	ds_bpermute_b32 v7, v13, v3
	s_wait_dscnt 0x0
	v_cmp_gt_f64_e64 s4, v[3:4], v[7:8]
	s_wait_alu 0xf1ff
	s_delay_alu instid0(VALU_DEP_1)
	v_cndmask_b32_e64 v3, v3, v7, s4
	v_cndmask_b32_e32 v7, v2, v9, vcc_lo
	ds_bpermute_b32 v14, v10, v1
	v_cndmask_b32_e64 v4, v4, v8, s4
	ds_bpermute_b32 v2, v15, v4
	s_wait_dscnt 0x1
	v_cndmask_b32_e32 v8, v1, v14, vcc_lo
	ds_bpermute_b32 v1, v15, v3
	ds_bpermute_b32 v9, v11, v7
	;; [unrolled: 1-line block ×3, first 2 shown]
	s_wait_dscnt 0x2
	v_cmp_gt_f64_e32 vcc_lo, v[3:4], v[1:2]
	s_wait_dscnt 0x1
	v_cndmask_b32_e64 v7, v7, v9, s2
	s_wait_dscnt 0x0
	v_cndmask_b32_e64 v8, v8, v14, s2
	v_cmp_gt_i32_e64 s2, 32, v16
	ds_bpermute_b32 v9, v12, v7
	ds_bpermute_b32 v14, v12, v8
	s_wait_dscnt 0x1
	v_cndmask_b32_e64 v7, v7, v9, s3
	s_wait_alu 0xf1ff
	v_cndmask_b32_e64 v9, v6, v16, s2
	s_wait_dscnt 0x0
	v_cndmask_b32_e64 v8, v8, v14, s3
	s_delay_alu instid0(VALU_DEP_2)
	v_lshlrev_b32_e32 v16, 2, v9
	s_wait_alu 0xfffd
	v_cndmask_b32_e32 v2, v4, v2, vcc_lo
	ds_bpermute_b32 v17, v13, v8
	ds_bpermute_b32 v14, v13, v7
	v_cndmask_b32_e32 v1, v3, v1, vcc_lo
	ds_bpermute_b32 v4, v16, v2
	ds_bpermute_b32 v3, v16, v1
	s_wait_dscnt 0x3
	v_cndmask_b32_e64 v8, v8, v17, s4
	s_wait_dscnt 0x2
	v_cndmask_b32_e64 v7, v7, v14, s4
	ds_bpermute_b32 v14, v15, v8
	s_wait_dscnt 0x1
	v_cmp_gt_f64_e64 s2, v[1:2], v[3:4]
	s_wait_dscnt 0x0
	v_cndmask_b32_e32 v8, v8, v14, vcc_lo
	ds_bpermute_b32 v9, v15, v7
	v_and_b32_e32 v14, 63, v5
	ds_bpermute_b32 v17, v16, v8
	s_wait_alu 0xf1ff
	v_cndmask_b32_e64 v2, v2, v4, s2
	s_wait_dscnt 0x1
	v_cndmask_b32_e32 v7, v7, v9, vcc_lo
	v_cndmask_b32_e64 v1, v1, v3, s2
	v_cmp_eq_u32_e32 vcc_lo, 0, v14
	s_wait_dscnt 0x0
	v_cndmask_b32_e64 v3, v8, v17, s2
	ds_bpermute_b32 v9, v16, v7
	s_wait_dscnt 0x0
	v_cndmask_b32_e64 v4, v7, v9, s2
	s_and_saveexec_b32 s2, vcc_lo
; %bb.3:
	v_lshrrev_b32_e32 v7, 2, v5
	ds_store_2addr_b64 v7, v[1:2], v[3:4] offset1:1
; %bb.4:
	s_wait_alu 0xfffe
	s_or_b32 exec_lo, exec_lo, s2
	s_load_b32 s6, s[0:1], 0x58
	v_cmp_gt_u32_e64 s2, 64, v5
	s_wait_dscnt 0x0
	s_barrier_signal -1
	s_barrier_wait -1
	global_inv scope:SCOPE_SE
	s_and_saveexec_b32 s7, s2
	s_cbranch_execz .LBB2_8
; %bb.5:
	v_dual_mov_b32 v3, -1 :: v_dual_mov_b32 v2, 0x7fefffff
	v_dual_mov_b32 v4, -1 :: v_dual_mov_b32 v1, -1
	s_mov_b32 s4, exec_lo
	v_cmpx_gt_u32_e32 4, v14
; %bb.6:
	v_lshlrev_b32_e32 v1, 4, v14
	ds_load_b128 v[1:4], v1
; %bb.7:
	s_wait_alu 0xfffe
	s_or_b32 exec_lo, exec_lo, s4
	s_wait_dscnt 0x0
	ds_bpermute_b32 v9, v10, v2
	ds_bpermute_b32 v7, v10, v1
	;; [unrolled: 1-line block ×3, first 2 shown]
	s_wait_dscnt 0x2
	v_mov_b32_e32 v8, v9
	s_wait_dscnt 0x1
	s_delay_alu instid0(VALU_DEP_1) | instskip(SKIP_1) | instid1(VALU_DEP_1)
	v_cmp_gt_f64_e64 s3, v[1:2], v[7:8]
	s_wait_alu 0xf1ff
	v_cndmask_b32_e64 v2, v2, v9, s3
	v_cndmask_b32_e64 v1, v1, v7, s3
	s_wait_dscnt 0x0
	v_cndmask_b32_e64 v4, v4, v17, s3
	ds_bpermute_b32 v9, v11, v2
	ds_bpermute_b32 v7, v11, v1
	ds_bpermute_b32 v18, v11, v4
	s_wait_dscnt 0x2
	v_mov_b32_e32 v8, v9
	s_wait_dscnt 0x1
	s_delay_alu instid0(VALU_DEP_1) | instskip(SKIP_1) | instid1(VALU_DEP_1)
	v_cmp_gt_f64_e64 s4, v[1:2], v[7:8]
	s_wait_alu 0xf1ff
	v_cndmask_b32_e64 v2, v2, v9, s4
	v_cndmask_b32_e64 v1, v1, v7, s4
	ds_bpermute_b32 v9, v12, v2
	ds_bpermute_b32 v7, v12, v1
	s_wait_dscnt 0x1
	v_mov_b32_e32 v8, v9
	s_wait_dscnt 0x0
	s_delay_alu instid0(VALU_DEP_1)
	v_cmp_gt_f64_e64 s5, v[1:2], v[7:8]
	ds_bpermute_b32 v8, v10, v3
	s_wait_dscnt 0x0
	v_cndmask_b32_e64 v8, v3, v8, s3
	ds_bpermute_b32 v17, v11, v8
	s_wait_alu 0xf1ff
	v_cndmask_b32_e64 v2, v2, v9, s5
	v_cndmask_b32_e64 v1, v1, v7, s5
	ds_bpermute_b32 v9, v13, v2
	ds_bpermute_b32 v3, v13, v1
	s_wait_dscnt 0x2
	v_cndmask_b32_e64 v7, v8, v17, s4
	v_cndmask_b32_e64 v8, v4, v18, s4
	ds_bpermute_b32 v17, v12, v7
	ds_bpermute_b32 v18, v12, v8
	s_wait_dscnt 0x3
	v_mov_b32_e32 v4, v9
	s_wait_dscnt 0x2
	s_delay_alu instid0(VALU_DEP_1)
	v_cmp_gt_f64_e64 s3, v[1:2], v[3:4]
	s_wait_dscnt 0x1
	v_cndmask_b32_e64 v7, v7, v17, s5
	s_wait_dscnt 0x0
	v_cndmask_b32_e64 v4, v8, v18, s5
	ds_bpermute_b32 v17, v13, v7
	ds_bpermute_b32 v8, v13, v4
	s_wait_alu 0xf1ff
	v_cndmask_b32_e64 v2, v2, v9, s3
	v_cndmask_b32_e64 v1, v1, v3, s3
	s_wait_dscnt 0x0
	v_cndmask_b32_e64 v4, v4, v8, s3
	v_cndmask_b32_e64 v3, v7, v17, s3
.LBB2_8:
	s_wait_alu 0xfffe
	s_or_b32 exec_lo, exec_lo, s7
	s_load_b256 s[8:15], s[0:1], 0x38
	s_add_nc_u64 s[4:5], s[0:1], 0x58
	v_dual_mov_b32 v7, 0 :: v_dual_mov_b32 v8, 0
	v_cmp_eq_u32_e64 s0, 0, v5
	s_wait_loadcnt 0x0
	s_barrier_signal -1
	s_barrier_wait -1
	global_inv scope:SCOPE_SE
	s_and_saveexec_b32 s3, s0
	s_cbranch_execz .LBB2_10
; %bb.9:
	s_wait_kmcnt 0x0
	s_add_co_i32 s1, s6, -1
	s_mov_b32 s16, ttmp9
	s_ashr_i32 s17, ttmp9, 31
	v_dual_mov_b32 v8, 0 :: v_dual_mov_b32 v9, s1
	s_lshl_b64 s[16:17], s[16:17], 3
	s_delay_alu instid0(SALU_CYCLE_1)
	s_add_nc_u64 s[18:19], s[10:11], s[16:17]
	s_add_nc_u64 s[16:17], s[12:13], s[16:17]
	s_clause 0x1
	global_store_b64 v8, v[1:2], s[18:19]
	global_store_b64 v8, v[3:4], s[16:17]
	s_wait_loadcnt 0x0
	s_wait_storecnt 0x0
	global_inv scope:SCOPE_DEV
	global_atomic_inc_u32 v1, v8, v9, s[14:15] th:TH_ATOMIC_RETURN scope:SCOPE_DEV
	s_wait_loadcnt 0x0
	v_cmp_eq_u32_e64 s1, s1, v1
	s_wait_alu 0xf1ff
	s_delay_alu instid0(VALU_DEP_1)
	v_cndmask_b32_e64 v8, 0, 1, s1
.LBB2_10:
	s_wait_alu 0xfffe
	s_or_b32 exec_lo, exec_lo, s3
	global_load_b32 v1, v7, s[4:5] offset:14
	s_wait_kmcnt 0x0
	s_mov_b32 s15, 0
	s_wait_loadcnt 0x0
	v_readfirstlane_b32 s1, v1
	v_or_b32_dpp v1, v8, v8 row_shl:1 row_mask:0xf bank_mask:0xf bound_ctrl:1
	s_lshr_b32 s7, s1, 16
	s_and_b32 s1, s1, 0xffff
	s_cmp_lt_u32 ttmp9, s6
	s_delay_alu instid0(VALU_DEP_1) | instskip(SKIP_1) | instid1(SALU_CYCLE_1)
	v_or_b32_dpp v1, v1, v1 row_shl:2 row_mask:0xf bank_mask:0xf bound_ctrl:1
	s_cselect_b32 s14, 12, 18
	s_add_nc_u64 s[4:5], s[4:5], s[14:15]
	s_load_u16 s3, s[4:5], 0x0
	s_delay_alu instid0(VALU_DEP_1) | instskip(NEXT) | instid1(VALU_DEP_1)
	v_or_b32_dpp v1, v1, v1 row_shl:4 row_mask:0xf bank_mask:0xf bound_ctrl:1
	v_or_b32_dpp v1, v1, v1 row_shl:8 row_mask:0xf bank_mask:0xf bound_ctrl:1
	s_delay_alu instid0(VALU_DEP_1) | instskip(NEXT) | instid1(VALU_DEP_1)
	v_mov_b32_dpp v1, v1 row_share:0 row_mask:0xf bank_mask:0xf bound_ctrl:1
	v_permlanex16_b32 v2, v1, 0, 0 op_sel:[0,1]
	s_wait_kmcnt 0x0
	s_mul_i32 s4, s1, s3
	s_delay_alu instid0(VALU_DEP_1)
	v_or_b32_e32 v2, v2, v1
	s_wait_alu 0xfffe
	s_bfe_i32 s4, s4, 0x180000
	s_wait_alu 0xfffe
	s_mul_i32 s4, s4, s7
	s_wait_alu 0xfffe
	s_add_co_i32 s4, s4, 31
	s_wait_alu 0xfffe
	s_and_not1_b32 s4, s4, 31
	s_wait_alu 0xfffe
	s_cmp_eq_u32 s4, 32
	s_cbranch_scc1 .LBB2_19
; %bb.11:
	v_bfe_u32 v1, v0, 10, 10
	v_bfe_u32 v0, v0, 20, 10
	s_delay_alu instid0(VALU_DEP_1) | instskip(NEXT) | instid1(VALU_DEP_1)
	v_mad_u32_u24 v0, v0, s1, v1
	v_mad_co_u64_u32 v[0:1], null, v0, s3, v[5:6]
	s_mov_b32 s3, exec_lo
	v_lshrrev_b32_e32 v1, 5, v0
	s_delay_alu instid0(VALU_DEP_1) | instskip(NEXT) | instid1(VALU_DEP_1)
	v_or_b32_e32 v1, v1, v6
	v_cmpx_eq_u32_e32 0, v1
; %bb.12:
	v_mov_b32_e32 v1, 0
	ds_store_b32 v1, v2 offset:256
; %bb.13:
	s_wait_alu 0xfffe
	s_or_b32 exec_lo, exec_lo, s3
	v_cmp_eq_u32_e64 s1, 0, v6
	v_cmp_lt_u32_e64 s3, 31, v0
	s_mov_b32 s4, 0
	s_wait_dscnt 0x0
	s_barrier_signal -1
	s_barrier_wait -1
	s_and_b32 s1, s1, s3
	global_inv scope:SCOPE_SE
	s_wait_alu 0xfffe
	s_and_saveexec_b32 s3, s1
	s_cbranch_execz .LBB2_18
; %bb.14:
	s_mov_b32 s1, exec_lo
.LBB2_15:                               ; =>This Inner Loop Header: Depth=1
	s_wait_alu 0xfffe
	s_ctz_i32_b32 s5, s1
	s_wait_alu 0xfffe
	v_readlane_b32 s7, v2, s5
	s_lshl_b32 s5, 1, s5
	s_wait_alu 0xfffe
	s_and_not1_b32 s1, s1, s5
	s_or_b32 s4, s4, s7
	s_wait_alu 0xfffe
	s_cmp_lg_u32 s1, 0
	s_cbranch_scc1 .LBB2_15
; %bb.16:
	v_mbcnt_lo_u32_b32 v0, exec_lo, 0
	s_mov_b32 s5, exec_lo
	s_delay_alu instid0(VALU_DEP_1)
	v_cmpx_eq_u32_e32 0, v0
	s_wait_alu 0xfffe
	s_xor_b32 s5, exec_lo, s5
; %bb.17:
	v_dual_mov_b32 v0, 0 :: v_dual_mov_b32 v1, s4
	ds_or_b32 v0, v1 offset:256
.LBB2_18:
	s_wait_alu 0xfffe
	s_or_b32 exec_lo, exec_lo, s3
	v_mov_b32_e32 v0, 0
	s_wait_loadcnt_dscnt 0x0
	s_barrier_signal -1
	s_barrier_wait -1
	global_inv scope:SCOPE_SE
	ds_load_b32 v2, v0 offset:256
	s_wait_loadcnt_dscnt 0x0
	s_barrier_signal -1
	s_barrier_wait -1
	global_inv scope:SCOPE_SE
.LBB2_19:
	s_mov_b32 s3, exec_lo
	v_cmpx_ne_u32_e32 0, v2
	s_cbranch_execz .LBB2_32
; %bb.20:
	v_dual_mov_b32 v0, -1 :: v_dual_mov_b32 v3, 0x7fefffff
	v_dual_mov_b32 v1, -1 :: v_dual_mov_b32 v2, -1
	s_mov_b32 s4, exec_lo
	s_wait_loadcnt 0x0
	global_inv scope:SCOPE_DEV
	v_cmpx_gt_i32_e64 s6, v5
	s_cbranch_execz .LBB2_24
; %bb.21:
	v_lshlrev_b32_e32 v0, 3, v5
	s_mov_b32 s5, 0
	v_mov_b32_e32 v4, v5
	s_delay_alu instid0(VALU_DEP_2)
	v_add_co_u32 v6, s1, s10, v0
	s_wait_alu 0xf1ff
	v_add_co_ci_u32_e64 v7, null, s11, 0, s1
	v_add_co_u32 v8, s1, s12, v0
	v_mov_b32_e32 v0, -1
	s_wait_alu 0xf1ff
	v_add_co_ci_u32_e64 v9, null, s13, 0, s1
	v_mov_b32_e32 v1, -1
.LBB2_22:                               ; =>This Inner Loop Header: Depth=1
	global_load_b64 v[17:18], v[6:7], off
	global_load_b64 v[19:20], v[8:9], off
	v_add_nc_u32_e32 v4, 0x100, v4
	v_add_co_u32 v6, s3, 0x800, v6
	s_wait_alu 0xf1fe
	v_add_co_ci_u32_e64 v7, null, 0, v7, s3
	v_add_co_u32 v8, s3, 0x800, v8
	s_wait_alu 0xf1ff
	v_add_co_ci_u32_e64 v9, null, 0, v9, s3
	v_cmp_le_i32_e64 s3, s6, v4
	s_or_b32 s5, s3, s5
	s_wait_loadcnt 0x1
	v_cmp_lt_f64_e64 s1, v[17:18], v[2:3]
	s_wait_alu 0xf1ff
	s_delay_alu instid0(VALU_DEP_1)
	v_cndmask_b32_e64 v3, v3, v18, s1
	v_cndmask_b32_e64 v2, v2, v17, s1
	s_wait_loadcnt 0x0
	v_cndmask_b32_e64 v1, v1, v20, s1
	v_cndmask_b32_e64 v0, v0, v19, s1
	s_wait_alu 0xfffe
	s_and_not1_b32 exec_lo, exec_lo, s5
	s_cbranch_execnz .LBB2_22
; %bb.23:
	s_or_b32 exec_lo, exec_lo, s5
.LBB2_24:
	s_wait_alu 0xfffe
	s_or_b32 exec_lo, exec_lo, s4
	ds_bpermute_b32 v6, v10, v2
	ds_bpermute_b32 v7, v10, v3
	ds_bpermute_b32 v4, v10, v1
	ds_bpermute_b32 v8, v10, v0
	s_wait_dscnt 0x2
	v_cmp_gt_f64_e64 s1, v[2:3], v[6:7]
	s_wait_alu 0xf1ff
	s_delay_alu instid0(VALU_DEP_1)
	v_cndmask_b32_e64 v3, v3, v7, s1
	v_cndmask_b32_e64 v2, v2, v6, s1
	s_wait_dscnt 0x1
	v_cndmask_b32_e64 v4, v1, v4, s1
	ds_bpermute_b32 v7, v11, v3
	ds_bpermute_b32 v6, v11, v2
	s_wait_dscnt 0x0
	v_cmp_gt_f64_e64 s3, v[2:3], v[6:7]
	s_wait_alu 0xf1ff
	s_delay_alu instid0(VALU_DEP_1)
	v_cndmask_b32_e64 v3, v3, v7, s3
	v_cndmask_b32_e64 v2, v2, v6, s3
	ds_bpermute_b32 v7, v12, v3
	ds_bpermute_b32 v6, v12, v2
	s_wait_dscnt 0x0
	v_cmp_gt_f64_e64 s4, v[2:3], v[6:7]
	s_wait_alu 0xf1ff
	s_delay_alu instid0(VALU_DEP_1)
	v_cndmask_b32_e64 v3, v3, v7, s4
	;; [unrolled: 8-line block ×3, first 2 shown]
	v_cndmask_b32_e64 v2, v2, v6, s5
	v_cndmask_b32_e64 v6, v0, v8, s1
	ds_bpermute_b32 v7, v11, v4
	ds_bpermute_b32 v1, v15, v3
	;; [unrolled: 1-line block ×4, first 2 shown]
	s_wait_dscnt 0x3
	v_cndmask_b32_e64 v4, v4, v7, s3
	s_wait_dscnt 0x1
	v_cmp_gt_f64_e64 s1, v[2:3], v[0:1]
	s_wait_dscnt 0x0
	v_cndmask_b32_e64 v6, v6, v8, s3
	ds_bpermute_b32 v7, v12, v4
	ds_bpermute_b32 v8, v12, v6
	s_wait_dscnt 0x1
	v_cndmask_b32_e64 v4, v4, v7, s4
	s_wait_dscnt 0x0
	v_cndmask_b32_e64 v6, v6, v8, s4
	ds_bpermute_b32 v7, v13, v4
	ds_bpermute_b32 v8, v13, v6
	s_wait_alu 0xf1ff
	v_cndmask_b32_e64 v1, v3, v1, s1
	v_cndmask_b32_e64 v0, v2, v0, s1
	ds_bpermute_b32 v3, v16, v1
	ds_bpermute_b32 v2, v16, v0
	s_wait_dscnt 0x3
	v_cndmask_b32_e64 v4, v4, v7, s5
	s_wait_dscnt 0x2
	v_cndmask_b32_e64 v6, v6, v8, s5
	ds_bpermute_b32 v7, v15, v4
	ds_bpermute_b32 v8, v15, v6
	s_wait_dscnt 0x2
	v_cmp_gt_f64_e64 s3, v[0:1], v[2:3]
	s_wait_dscnt 0x1
	v_cndmask_b32_e64 v4, v4, v7, s1
	s_wait_dscnt 0x0
	v_cndmask_b32_e64 v6, v6, v8, s1
	ds_bpermute_b32 v7, v16, v4
	ds_bpermute_b32 v8, v16, v6
	s_wait_alu 0xf1ff
	v_cndmask_b32_e64 v1, v1, v3, s3
	v_cndmask_b32_e64 v0, v0, v2, s3
	s_wait_dscnt 0x1
	v_cndmask_b32_e64 v3, v4, v7, s3
	s_wait_dscnt 0x0
	v_cndmask_b32_e64 v2, v6, v8, s3
	s_and_saveexec_b32 s1, vcc_lo
; %bb.25:
	v_lshrrev_b32_e32 v4, 2, v5
	ds_store_2addr_b64 v4, v[0:1], v[2:3] offset1:1
; %bb.26:
	s_wait_alu 0xfffe
	s_or_b32 exec_lo, exec_lo, s1
	s_wait_loadcnt_dscnt 0x0
	s_barrier_signal -1
	s_barrier_wait -1
	global_inv scope:SCOPE_SE
	s_and_saveexec_b32 s3, s2
	s_cbranch_execz .LBB2_30
; %bb.27:
	v_dual_mov_b32 v2, -1 :: v_dual_mov_b32 v1, 0x7fefffff
	v_dual_mov_b32 v3, -1 :: v_dual_mov_b32 v0, -1
	s_mov_b32 s1, exec_lo
	v_cmpx_gt_u32_e32 4, v14
; %bb.28:
	v_lshlrev_b32_e32 v0, 4, v14
	ds_load_b128 v[0:3], v0
; %bb.29:
	s_wait_alu 0xfffe
	s_or_b32 exec_lo, exec_lo, s1
	s_wait_dscnt 0x0
	ds_bpermute_b32 v6, v10, v1
	ds_bpermute_b32 v4, v10, v0
	;; [unrolled: 1-line block ×3, first 2 shown]
	s_wait_dscnt 0x2
	v_mov_b32_e32 v5, v6
	s_wait_dscnt 0x1
	s_delay_alu instid0(VALU_DEP_1)
	v_cmp_gt_f64_e32 vcc_lo, v[0:1], v[4:5]
	s_wait_alu 0xfffd
	v_dual_cndmask_b32 v1, v1, v6 :: v_dual_cndmask_b32 v0, v0, v4
	s_wait_dscnt 0x0
	v_cndmask_b32_e32 v3, v3, v7, vcc_lo
	ds_bpermute_b32 v6, v11, v1
	ds_bpermute_b32 v4, v11, v0
	;; [unrolled: 1-line block ×3, first 2 shown]
	s_wait_dscnt 0x2
	v_mov_b32_e32 v5, v6
	s_wait_dscnt 0x1
	s_delay_alu instid0(VALU_DEP_1) | instskip(SKIP_1) | instid1(VALU_DEP_1)
	v_cmp_gt_f64_e64 s1, v[0:1], v[4:5]
	s_wait_alu 0xf1ff
	v_cndmask_b32_e64 v1, v1, v6, s1
	v_cndmask_b32_e64 v0, v0, v4, s1
	ds_bpermute_b32 v6, v12, v1
	ds_bpermute_b32 v4, v12, v0
	s_wait_dscnt 0x1
	v_mov_b32_e32 v5, v6
	s_wait_dscnt 0x0
	s_delay_alu instid0(VALU_DEP_1)
	v_cmp_gt_f64_e64 s2, v[0:1], v[4:5]
	ds_bpermute_b32 v5, v10, v2
	s_wait_dscnt 0x0
	v_cndmask_b32_e32 v5, v2, v5, vcc_lo
	ds_bpermute_b32 v7, v11, v5
	s_wait_alu 0xf1ff
	v_cndmask_b32_e64 v1, v1, v6, s2
	v_cndmask_b32_e64 v0, v0, v4, s2
	ds_bpermute_b32 v6, v13, v1
	ds_bpermute_b32 v2, v13, v0
	s_wait_dscnt 0x2
	v_cndmask_b32_e64 v4, v5, v7, s1
	v_cndmask_b32_e64 v5, v3, v8, s1
	ds_bpermute_b32 v7, v12, v4
	ds_bpermute_b32 v8, v12, v5
	s_wait_dscnt 0x3
	v_mov_b32_e32 v3, v6
	s_wait_dscnt 0x2
	s_delay_alu instid0(VALU_DEP_1)
	v_cmp_gt_f64_e32 vcc_lo, v[0:1], v[2:3]
	s_wait_dscnt 0x1
	v_cndmask_b32_e64 v4, v4, v7, s2
	s_wait_dscnt 0x0
	v_cndmask_b32_e64 v3, v5, v8, s2
	ds_bpermute_b32 v7, v13, v4
	ds_bpermute_b32 v5, v13, v3
	s_wait_alu 0xfffd
	v_cndmask_b32_e32 v1, v1, v6, vcc_lo
	s_wait_dscnt 0x0
	v_dual_cndmask_b32 v0, v0, v2 :: v_dual_cndmask_b32 v3, v3, v5
	v_cndmask_b32_e32 v2, v4, v7, vcc_lo
.LBB2_30:
	s_wait_alu 0xfffe
	s_or_b32 exec_lo, exec_lo, s3
	s_wait_loadcnt 0x0
	s_barrier_signal -1
	s_barrier_wait -1
	global_inv scope:SCOPE_SE
	s_and_b32 exec_lo, exec_lo, s0
	s_cbranch_execz .LBB2_32
; %bb.31:
	v_mov_b32_e32 v4, 0
	global_store_b128 v4, v[0:3], s[8:9]
.LBB2_32:
	s_endpgm
	.section	.rodata,"a",@progbits
	.p2align	6, 0x0
	.amdhsa_kernel _ZN4RAJA6policy3hip4impl18forallp_hip_kernelINS1_8hip_execINS_17iteration_mapping6DirectENS_3hip11IndexGlobalILNS_9named_dimE0ELi256ELi0EEENS7_40AvoidDeviceMaxThreadOccupancyConcretizerINS7_34FractionOffsetOccupancyConcretizerINS_8FractionImLm1ELm1EEELln1EEEEELb1EEENS_9Iterators16numeric_iteratorIllPlEEZN8rajaperf5lcals9FIRST_MIN26runHipVariantRAJANewReduceILm256ENSM_11gpu_mapping20global_direct_helperEEEvNSM_9VariantIDEEUllRNS_4expt5ValOpINST_6ValLocIdlEENS_9operators7minimumEEEE_lNST_15ForallParamPackIJNST_6detail7ReducerINSY_ISW_SW_SW_EESW_SZ_EEEEES6_SA_TnNSt9enable_ifIXaasr3std10is_base_ofINS5_10DirectBaseET4_EE5valuegtsrT5_10block_sizeLi0EEmE4typeELm256EEEvT1_T0_T2_T3_
		.amdhsa_group_segment_fixed_size 512
		.amdhsa_private_segment_fixed_size 0
		.amdhsa_kernarg_size 344
		.amdhsa_user_sgpr_count 2
		.amdhsa_user_sgpr_dispatch_ptr 0
		.amdhsa_user_sgpr_queue_ptr 0
		.amdhsa_user_sgpr_kernarg_segment_ptr 1
		.amdhsa_user_sgpr_dispatch_id 0
		.amdhsa_user_sgpr_private_segment_size 0
		.amdhsa_wavefront_size32 1
		.amdhsa_uses_dynamic_stack 0
		.amdhsa_enable_private_segment 0
		.amdhsa_system_sgpr_workgroup_id_x 1
		.amdhsa_system_sgpr_workgroup_id_y 0
		.amdhsa_system_sgpr_workgroup_id_z 0
		.amdhsa_system_sgpr_workgroup_info 0
		.amdhsa_system_vgpr_workitem_id 2
		.amdhsa_next_free_vgpr 21
		.amdhsa_next_free_sgpr 20
		.amdhsa_reserve_vcc 1
		.amdhsa_float_round_mode_32 0
		.amdhsa_float_round_mode_16_64 0
		.amdhsa_float_denorm_mode_32 3
		.amdhsa_float_denorm_mode_16_64 3
		.amdhsa_fp16_overflow 0
		.amdhsa_workgroup_processor_mode 1
		.amdhsa_memory_ordered 1
		.amdhsa_forward_progress 1
		.amdhsa_inst_pref_size 27
		.amdhsa_round_robin_scheduling 0
		.amdhsa_exception_fp_ieee_invalid_op 0
		.amdhsa_exception_fp_denorm_src 0
		.amdhsa_exception_fp_ieee_div_zero 0
		.amdhsa_exception_fp_ieee_overflow 0
		.amdhsa_exception_fp_ieee_underflow 0
		.amdhsa_exception_fp_ieee_inexact 0
		.amdhsa_exception_int_div_zero 0
	.end_amdhsa_kernel
	.section	.text._ZN4RAJA6policy3hip4impl18forallp_hip_kernelINS1_8hip_execINS_17iteration_mapping6DirectENS_3hip11IndexGlobalILNS_9named_dimE0ELi256ELi0EEENS7_40AvoidDeviceMaxThreadOccupancyConcretizerINS7_34FractionOffsetOccupancyConcretizerINS_8FractionImLm1ELm1EEELln1EEEEELb1EEENS_9Iterators16numeric_iteratorIllPlEEZN8rajaperf5lcals9FIRST_MIN26runHipVariantRAJANewReduceILm256ENSM_11gpu_mapping20global_direct_helperEEEvNSM_9VariantIDEEUllRNS_4expt5ValOpINST_6ValLocIdlEENS_9operators7minimumEEEE_lNST_15ForallParamPackIJNST_6detail7ReducerINSY_ISW_SW_SW_EESW_SZ_EEEEES6_SA_TnNSt9enable_ifIXaasr3std10is_base_ofINS5_10DirectBaseET4_EE5valuegtsrT5_10block_sizeLi0EEmE4typeELm256EEEvT1_T0_T2_T3_,"axG",@progbits,_ZN4RAJA6policy3hip4impl18forallp_hip_kernelINS1_8hip_execINS_17iteration_mapping6DirectENS_3hip11IndexGlobalILNS_9named_dimE0ELi256ELi0EEENS7_40AvoidDeviceMaxThreadOccupancyConcretizerINS7_34FractionOffsetOccupancyConcretizerINS_8FractionImLm1ELm1EEELln1EEEEELb1EEENS_9Iterators16numeric_iteratorIllPlEEZN8rajaperf5lcals9FIRST_MIN26runHipVariantRAJANewReduceILm256ENSM_11gpu_mapping20global_direct_helperEEEvNSM_9VariantIDEEUllRNS_4expt5ValOpINST_6ValLocIdlEENS_9operators7minimumEEEE_lNST_15ForallParamPackIJNST_6detail7ReducerINSY_ISW_SW_SW_EESW_SZ_EEEEES6_SA_TnNSt9enable_ifIXaasr3std10is_base_ofINS5_10DirectBaseET4_EE5valuegtsrT5_10block_sizeLi0EEmE4typeELm256EEEvT1_T0_T2_T3_,comdat
.Lfunc_end2:
	.size	_ZN4RAJA6policy3hip4impl18forallp_hip_kernelINS1_8hip_execINS_17iteration_mapping6DirectENS_3hip11IndexGlobalILNS_9named_dimE0ELi256ELi0EEENS7_40AvoidDeviceMaxThreadOccupancyConcretizerINS7_34FractionOffsetOccupancyConcretizerINS_8FractionImLm1ELm1EEELln1EEEEELb1EEENS_9Iterators16numeric_iteratorIllPlEEZN8rajaperf5lcals9FIRST_MIN26runHipVariantRAJANewReduceILm256ENSM_11gpu_mapping20global_direct_helperEEEvNSM_9VariantIDEEUllRNS_4expt5ValOpINST_6ValLocIdlEENS_9operators7minimumEEEE_lNST_15ForallParamPackIJNST_6detail7ReducerINSY_ISW_SW_SW_EESW_SZ_EEEEES6_SA_TnNSt9enable_ifIXaasr3std10is_base_ofINS5_10DirectBaseET4_EE5valuegtsrT5_10block_sizeLi0EEmE4typeELm256EEEvT1_T0_T2_T3_, .Lfunc_end2-_ZN4RAJA6policy3hip4impl18forallp_hip_kernelINS1_8hip_execINS_17iteration_mapping6DirectENS_3hip11IndexGlobalILNS_9named_dimE0ELi256ELi0EEENS7_40AvoidDeviceMaxThreadOccupancyConcretizerINS7_34FractionOffsetOccupancyConcretizerINS_8FractionImLm1ELm1EEELln1EEEEELb1EEENS_9Iterators16numeric_iteratorIllPlEEZN8rajaperf5lcals9FIRST_MIN26runHipVariantRAJANewReduceILm256ENSM_11gpu_mapping20global_direct_helperEEEvNSM_9VariantIDEEUllRNS_4expt5ValOpINST_6ValLocIdlEENS_9operators7minimumEEEE_lNST_15ForallParamPackIJNST_6detail7ReducerINSY_ISW_SW_SW_EESW_SZ_EEEEES6_SA_TnNSt9enable_ifIXaasr3std10is_base_ofINS5_10DirectBaseET4_EE5valuegtsrT5_10block_sizeLi0EEmE4typeELm256EEEvT1_T0_T2_T3_
                                        ; -- End function
	.set _ZN4RAJA6policy3hip4impl18forallp_hip_kernelINS1_8hip_execINS_17iteration_mapping6DirectENS_3hip11IndexGlobalILNS_9named_dimE0ELi256ELi0EEENS7_40AvoidDeviceMaxThreadOccupancyConcretizerINS7_34FractionOffsetOccupancyConcretizerINS_8FractionImLm1ELm1EEELln1EEEEELb1EEENS_9Iterators16numeric_iteratorIllPlEEZN8rajaperf5lcals9FIRST_MIN26runHipVariantRAJANewReduceILm256ENSM_11gpu_mapping20global_direct_helperEEEvNSM_9VariantIDEEUllRNS_4expt5ValOpINST_6ValLocIdlEENS_9operators7minimumEEEE_lNST_15ForallParamPackIJNST_6detail7ReducerINSY_ISW_SW_SW_EESW_SZ_EEEEES6_SA_TnNSt9enable_ifIXaasr3std10is_base_ofINS5_10DirectBaseET4_EE5valuegtsrT5_10block_sizeLi0EEmE4typeELm256EEEvT1_T0_T2_T3_.num_vgpr, 21
	.set _ZN4RAJA6policy3hip4impl18forallp_hip_kernelINS1_8hip_execINS_17iteration_mapping6DirectENS_3hip11IndexGlobalILNS_9named_dimE0ELi256ELi0EEENS7_40AvoidDeviceMaxThreadOccupancyConcretizerINS7_34FractionOffsetOccupancyConcretizerINS_8FractionImLm1ELm1EEELln1EEEEELb1EEENS_9Iterators16numeric_iteratorIllPlEEZN8rajaperf5lcals9FIRST_MIN26runHipVariantRAJANewReduceILm256ENSM_11gpu_mapping20global_direct_helperEEEvNSM_9VariantIDEEUllRNS_4expt5ValOpINST_6ValLocIdlEENS_9operators7minimumEEEE_lNST_15ForallParamPackIJNST_6detail7ReducerINSY_ISW_SW_SW_EESW_SZ_EEEEES6_SA_TnNSt9enable_ifIXaasr3std10is_base_ofINS5_10DirectBaseET4_EE5valuegtsrT5_10block_sizeLi0EEmE4typeELm256EEEvT1_T0_T2_T3_.num_agpr, 0
	.set _ZN4RAJA6policy3hip4impl18forallp_hip_kernelINS1_8hip_execINS_17iteration_mapping6DirectENS_3hip11IndexGlobalILNS_9named_dimE0ELi256ELi0EEENS7_40AvoidDeviceMaxThreadOccupancyConcretizerINS7_34FractionOffsetOccupancyConcretizerINS_8FractionImLm1ELm1EEELln1EEEEELb1EEENS_9Iterators16numeric_iteratorIllPlEEZN8rajaperf5lcals9FIRST_MIN26runHipVariantRAJANewReduceILm256ENSM_11gpu_mapping20global_direct_helperEEEvNSM_9VariantIDEEUllRNS_4expt5ValOpINST_6ValLocIdlEENS_9operators7minimumEEEE_lNST_15ForallParamPackIJNST_6detail7ReducerINSY_ISW_SW_SW_EESW_SZ_EEEEES6_SA_TnNSt9enable_ifIXaasr3std10is_base_ofINS5_10DirectBaseET4_EE5valuegtsrT5_10block_sizeLi0EEmE4typeELm256EEEvT1_T0_T2_T3_.numbered_sgpr, 20
	.set _ZN4RAJA6policy3hip4impl18forallp_hip_kernelINS1_8hip_execINS_17iteration_mapping6DirectENS_3hip11IndexGlobalILNS_9named_dimE0ELi256ELi0EEENS7_40AvoidDeviceMaxThreadOccupancyConcretizerINS7_34FractionOffsetOccupancyConcretizerINS_8FractionImLm1ELm1EEELln1EEEEELb1EEENS_9Iterators16numeric_iteratorIllPlEEZN8rajaperf5lcals9FIRST_MIN26runHipVariantRAJANewReduceILm256ENSM_11gpu_mapping20global_direct_helperEEEvNSM_9VariantIDEEUllRNS_4expt5ValOpINST_6ValLocIdlEENS_9operators7minimumEEEE_lNST_15ForallParamPackIJNST_6detail7ReducerINSY_ISW_SW_SW_EESW_SZ_EEEEES6_SA_TnNSt9enable_ifIXaasr3std10is_base_ofINS5_10DirectBaseET4_EE5valuegtsrT5_10block_sizeLi0EEmE4typeELm256EEEvT1_T0_T2_T3_.num_named_barrier, 0
	.set _ZN4RAJA6policy3hip4impl18forallp_hip_kernelINS1_8hip_execINS_17iteration_mapping6DirectENS_3hip11IndexGlobalILNS_9named_dimE0ELi256ELi0EEENS7_40AvoidDeviceMaxThreadOccupancyConcretizerINS7_34FractionOffsetOccupancyConcretizerINS_8FractionImLm1ELm1EEELln1EEEEELb1EEENS_9Iterators16numeric_iteratorIllPlEEZN8rajaperf5lcals9FIRST_MIN26runHipVariantRAJANewReduceILm256ENSM_11gpu_mapping20global_direct_helperEEEvNSM_9VariantIDEEUllRNS_4expt5ValOpINST_6ValLocIdlEENS_9operators7minimumEEEE_lNST_15ForallParamPackIJNST_6detail7ReducerINSY_ISW_SW_SW_EESW_SZ_EEEEES6_SA_TnNSt9enable_ifIXaasr3std10is_base_ofINS5_10DirectBaseET4_EE5valuegtsrT5_10block_sizeLi0EEmE4typeELm256EEEvT1_T0_T2_T3_.private_seg_size, 0
	.set _ZN4RAJA6policy3hip4impl18forallp_hip_kernelINS1_8hip_execINS_17iteration_mapping6DirectENS_3hip11IndexGlobalILNS_9named_dimE0ELi256ELi0EEENS7_40AvoidDeviceMaxThreadOccupancyConcretizerINS7_34FractionOffsetOccupancyConcretizerINS_8FractionImLm1ELm1EEELln1EEEEELb1EEENS_9Iterators16numeric_iteratorIllPlEEZN8rajaperf5lcals9FIRST_MIN26runHipVariantRAJANewReduceILm256ENSM_11gpu_mapping20global_direct_helperEEEvNSM_9VariantIDEEUllRNS_4expt5ValOpINST_6ValLocIdlEENS_9operators7minimumEEEE_lNST_15ForallParamPackIJNST_6detail7ReducerINSY_ISW_SW_SW_EESW_SZ_EEEEES6_SA_TnNSt9enable_ifIXaasr3std10is_base_ofINS5_10DirectBaseET4_EE5valuegtsrT5_10block_sizeLi0EEmE4typeELm256EEEvT1_T0_T2_T3_.uses_vcc, 1
	.set _ZN4RAJA6policy3hip4impl18forallp_hip_kernelINS1_8hip_execINS_17iteration_mapping6DirectENS_3hip11IndexGlobalILNS_9named_dimE0ELi256ELi0EEENS7_40AvoidDeviceMaxThreadOccupancyConcretizerINS7_34FractionOffsetOccupancyConcretizerINS_8FractionImLm1ELm1EEELln1EEEEELb1EEENS_9Iterators16numeric_iteratorIllPlEEZN8rajaperf5lcals9FIRST_MIN26runHipVariantRAJANewReduceILm256ENSM_11gpu_mapping20global_direct_helperEEEvNSM_9VariantIDEEUllRNS_4expt5ValOpINST_6ValLocIdlEENS_9operators7minimumEEEE_lNST_15ForallParamPackIJNST_6detail7ReducerINSY_ISW_SW_SW_EESW_SZ_EEEEES6_SA_TnNSt9enable_ifIXaasr3std10is_base_ofINS5_10DirectBaseET4_EE5valuegtsrT5_10block_sizeLi0EEmE4typeELm256EEEvT1_T0_T2_T3_.uses_flat_scratch, 0
	.set _ZN4RAJA6policy3hip4impl18forallp_hip_kernelINS1_8hip_execINS_17iteration_mapping6DirectENS_3hip11IndexGlobalILNS_9named_dimE0ELi256ELi0EEENS7_40AvoidDeviceMaxThreadOccupancyConcretizerINS7_34FractionOffsetOccupancyConcretizerINS_8FractionImLm1ELm1EEELln1EEEEELb1EEENS_9Iterators16numeric_iteratorIllPlEEZN8rajaperf5lcals9FIRST_MIN26runHipVariantRAJANewReduceILm256ENSM_11gpu_mapping20global_direct_helperEEEvNSM_9VariantIDEEUllRNS_4expt5ValOpINST_6ValLocIdlEENS_9operators7minimumEEEE_lNST_15ForallParamPackIJNST_6detail7ReducerINSY_ISW_SW_SW_EESW_SZ_EEEEES6_SA_TnNSt9enable_ifIXaasr3std10is_base_ofINS5_10DirectBaseET4_EE5valuegtsrT5_10block_sizeLi0EEmE4typeELm256EEEvT1_T0_T2_T3_.has_dyn_sized_stack, 0
	.set _ZN4RAJA6policy3hip4impl18forallp_hip_kernelINS1_8hip_execINS_17iteration_mapping6DirectENS_3hip11IndexGlobalILNS_9named_dimE0ELi256ELi0EEENS7_40AvoidDeviceMaxThreadOccupancyConcretizerINS7_34FractionOffsetOccupancyConcretizerINS_8FractionImLm1ELm1EEELln1EEEEELb1EEENS_9Iterators16numeric_iteratorIllPlEEZN8rajaperf5lcals9FIRST_MIN26runHipVariantRAJANewReduceILm256ENSM_11gpu_mapping20global_direct_helperEEEvNSM_9VariantIDEEUllRNS_4expt5ValOpINST_6ValLocIdlEENS_9operators7minimumEEEE_lNST_15ForallParamPackIJNST_6detail7ReducerINSY_ISW_SW_SW_EESW_SZ_EEEEES6_SA_TnNSt9enable_ifIXaasr3std10is_base_ofINS5_10DirectBaseET4_EE5valuegtsrT5_10block_sizeLi0EEmE4typeELm256EEEvT1_T0_T2_T3_.has_recursion, 0
	.set _ZN4RAJA6policy3hip4impl18forallp_hip_kernelINS1_8hip_execINS_17iteration_mapping6DirectENS_3hip11IndexGlobalILNS_9named_dimE0ELi256ELi0EEENS7_40AvoidDeviceMaxThreadOccupancyConcretizerINS7_34FractionOffsetOccupancyConcretizerINS_8FractionImLm1ELm1EEELln1EEEEELb1EEENS_9Iterators16numeric_iteratorIllPlEEZN8rajaperf5lcals9FIRST_MIN26runHipVariantRAJANewReduceILm256ENSM_11gpu_mapping20global_direct_helperEEEvNSM_9VariantIDEEUllRNS_4expt5ValOpINST_6ValLocIdlEENS_9operators7minimumEEEE_lNST_15ForallParamPackIJNST_6detail7ReducerINSY_ISW_SW_SW_EESW_SZ_EEEEES6_SA_TnNSt9enable_ifIXaasr3std10is_base_ofINS5_10DirectBaseET4_EE5valuegtsrT5_10block_sizeLi0EEmE4typeELm256EEEvT1_T0_T2_T3_.has_indirect_call, 0
	.section	.AMDGPU.csdata,"",@progbits
; Kernel info:
; codeLenInByte = 3448
; TotalNumSgprs: 22
; NumVgprs: 21
; ScratchSize: 0
; MemoryBound: 0
; FloatMode: 240
; IeeeMode: 1
; LDSByteSize: 512 bytes/workgroup (compile time only)
; SGPRBlocks: 0
; VGPRBlocks: 2
; NumSGPRsForWavesPerEU: 22
; NumVGPRsForWavesPerEU: 21
; Occupancy: 16
; WaveLimiterHint : 0
; COMPUTE_PGM_RSRC2:SCRATCH_EN: 0
; COMPUTE_PGM_RSRC2:USER_SGPR: 2
; COMPUTE_PGM_RSRC2:TRAP_HANDLER: 0
; COMPUTE_PGM_RSRC2:TGID_X_EN: 1
; COMPUTE_PGM_RSRC2:TGID_Y_EN: 0
; COMPUTE_PGM_RSRC2:TGID_Z_EN: 0
; COMPUTE_PGM_RSRC2:TIDIG_COMP_CNT: 2
	.section	.text._ZN4RAJA6policy3hip4impl18forallp_hip_kernelINS1_8hip_execINS_17iteration_mapping11StridedLoopILm0EEENS_3hip11IndexGlobalILNS_9named_dimE0ELi256ELi0EEENS8_40AvoidDeviceMaxThreadOccupancyConcretizerINS8_34FractionOffsetOccupancyConcretizerINS_8FractionImLm1ELm1EEELln1EEEEELb1EEENS_9Iterators16numeric_iteratorIllPlEEZN8rajaperf5lcals9FIRST_MIN17runHipVariantRAJAILm256ENSN_11gpu_mapping40global_loop_occupancy_grid_stride_helperEEEvNSN_9VariantIDEEUllE_lNS_4expt15ForallParamPackIJEEES7_SB_TnNSt9enable_ifIXaaaasr3std10is_base_ofINS5_15StridedLoopBaseET4_EE5valuesr3std10is_base_ofINS5_15UnsizedLoopBaseES10_EE5valuegtsrT5_10block_sizeLi0EEmE4typeELm256EEEvT1_T0_T2_T3_,"axG",@progbits,_ZN4RAJA6policy3hip4impl18forallp_hip_kernelINS1_8hip_execINS_17iteration_mapping11StridedLoopILm0EEENS_3hip11IndexGlobalILNS_9named_dimE0ELi256ELi0EEENS8_40AvoidDeviceMaxThreadOccupancyConcretizerINS8_34FractionOffsetOccupancyConcretizerINS_8FractionImLm1ELm1EEELln1EEEEELb1EEENS_9Iterators16numeric_iteratorIllPlEEZN8rajaperf5lcals9FIRST_MIN17runHipVariantRAJAILm256ENSN_11gpu_mapping40global_loop_occupancy_grid_stride_helperEEEvNSN_9VariantIDEEUllE_lNS_4expt15ForallParamPackIJEEES7_SB_TnNSt9enable_ifIXaaaasr3std10is_base_ofINS5_15StridedLoopBaseET4_EE5valuesr3std10is_base_ofINS5_15UnsizedLoopBaseES10_EE5valuegtsrT5_10block_sizeLi0EEmE4typeELm256EEEvT1_T0_T2_T3_,comdat
	.protected	_ZN4RAJA6policy3hip4impl18forallp_hip_kernelINS1_8hip_execINS_17iteration_mapping11StridedLoopILm0EEENS_3hip11IndexGlobalILNS_9named_dimE0ELi256ELi0EEENS8_40AvoidDeviceMaxThreadOccupancyConcretizerINS8_34FractionOffsetOccupancyConcretizerINS_8FractionImLm1ELm1EEELln1EEEEELb1EEENS_9Iterators16numeric_iteratorIllPlEEZN8rajaperf5lcals9FIRST_MIN17runHipVariantRAJAILm256ENSN_11gpu_mapping40global_loop_occupancy_grid_stride_helperEEEvNSN_9VariantIDEEUllE_lNS_4expt15ForallParamPackIJEEES7_SB_TnNSt9enable_ifIXaaaasr3std10is_base_ofINS5_15StridedLoopBaseET4_EE5valuesr3std10is_base_ofINS5_15UnsizedLoopBaseES10_EE5valuegtsrT5_10block_sizeLi0EEmE4typeELm256EEEvT1_T0_T2_T3_ ; -- Begin function _ZN4RAJA6policy3hip4impl18forallp_hip_kernelINS1_8hip_execINS_17iteration_mapping11StridedLoopILm0EEENS_3hip11IndexGlobalILNS_9named_dimE0ELi256ELi0EEENS8_40AvoidDeviceMaxThreadOccupancyConcretizerINS8_34FractionOffsetOccupancyConcretizerINS_8FractionImLm1ELm1EEELln1EEEEELb1EEENS_9Iterators16numeric_iteratorIllPlEEZN8rajaperf5lcals9FIRST_MIN17runHipVariantRAJAILm256ENSN_11gpu_mapping40global_loop_occupancy_grid_stride_helperEEEvNSN_9VariantIDEEUllE_lNS_4expt15ForallParamPackIJEEES7_SB_TnNSt9enable_ifIXaaaasr3std10is_base_ofINS5_15StridedLoopBaseET4_EE5valuesr3std10is_base_ofINS5_15UnsizedLoopBaseES10_EE5valuegtsrT5_10block_sizeLi0EEmE4typeELm256EEEvT1_T0_T2_T3_
	.globl	_ZN4RAJA6policy3hip4impl18forallp_hip_kernelINS1_8hip_execINS_17iteration_mapping11StridedLoopILm0EEENS_3hip11IndexGlobalILNS_9named_dimE0ELi256ELi0EEENS8_40AvoidDeviceMaxThreadOccupancyConcretizerINS8_34FractionOffsetOccupancyConcretizerINS_8FractionImLm1ELm1EEELln1EEEEELb1EEENS_9Iterators16numeric_iteratorIllPlEEZN8rajaperf5lcals9FIRST_MIN17runHipVariantRAJAILm256ENSN_11gpu_mapping40global_loop_occupancy_grid_stride_helperEEEvNSN_9VariantIDEEUllE_lNS_4expt15ForallParamPackIJEEES7_SB_TnNSt9enable_ifIXaaaasr3std10is_base_ofINS5_15StridedLoopBaseET4_EE5valuesr3std10is_base_ofINS5_15UnsizedLoopBaseES10_EE5valuegtsrT5_10block_sizeLi0EEmE4typeELm256EEEvT1_T0_T2_T3_
	.p2align	8
	.type	_ZN4RAJA6policy3hip4impl18forallp_hip_kernelINS1_8hip_execINS_17iteration_mapping11StridedLoopILm0EEENS_3hip11IndexGlobalILNS_9named_dimE0ELi256ELi0EEENS8_40AvoidDeviceMaxThreadOccupancyConcretizerINS8_34FractionOffsetOccupancyConcretizerINS_8FractionImLm1ELm1EEELln1EEEEELb1EEENS_9Iterators16numeric_iteratorIllPlEEZN8rajaperf5lcals9FIRST_MIN17runHipVariantRAJAILm256ENSN_11gpu_mapping40global_loop_occupancy_grid_stride_helperEEEvNSN_9VariantIDEEUllE_lNS_4expt15ForallParamPackIJEEES7_SB_TnNSt9enable_ifIXaaaasr3std10is_base_ofINS5_15StridedLoopBaseET4_EE5valuesr3std10is_base_ofINS5_15UnsizedLoopBaseES10_EE5valuegtsrT5_10block_sizeLi0EEmE4typeELm256EEEvT1_T0_T2_T3_,@function
_ZN4RAJA6policy3hip4impl18forallp_hip_kernelINS1_8hip_execINS_17iteration_mapping11StridedLoopILm0EEENS_3hip11IndexGlobalILNS_9named_dimE0ELi256ELi0EEENS8_40AvoidDeviceMaxThreadOccupancyConcretizerINS8_34FractionOffsetOccupancyConcretizerINS_8FractionImLm1ELm1EEELln1EEEEELb1EEENS_9Iterators16numeric_iteratorIllPlEEZN8rajaperf5lcals9FIRST_MIN17runHipVariantRAJAILm256ENSN_11gpu_mapping40global_loop_occupancy_grid_stride_helperEEEvNSN_9VariantIDEEUllE_lNS_4expt15ForallParamPackIJEEES7_SB_TnNSt9enable_ifIXaaaasr3std10is_base_ofINS5_15StridedLoopBaseET4_EE5valuesr3std10is_base_ofINS5_15UnsizedLoopBaseES10_EE5valuegtsrT5_10block_sizeLi0EEmE4typeELm256EEEvT1_T0_T2_T3_: ; @_ZN4RAJA6policy3hip4impl18forallp_hip_kernelINS1_8hip_execINS_17iteration_mapping11StridedLoopILm0EEENS_3hip11IndexGlobalILNS_9named_dimE0ELi256ELi0EEENS8_40AvoidDeviceMaxThreadOccupancyConcretizerINS8_34FractionOffsetOccupancyConcretizerINS_8FractionImLm1ELm1EEELln1EEEEELb1EEENS_9Iterators16numeric_iteratorIllPlEEZN8rajaperf5lcals9FIRST_MIN17runHipVariantRAJAILm256ENSN_11gpu_mapping40global_loop_occupancy_grid_stride_helperEEEvNSN_9VariantIDEEUllE_lNS_4expt15ForallParamPackIJEEES7_SB_TnNSt9enable_ifIXaaaasr3std10is_base_ofINS5_15StridedLoopBaseET4_EE5valuesr3std10is_base_ofINS5_15UnsizedLoopBaseES10_EE5valuegtsrT5_10block_sizeLi0EEmE4typeELm256EEEvT1_T0_T2_T3_
; %bb.0:
	s_clause 0x2
	s_load_b64 s[16:17], s[0:1], 0x60
	s_load_b256 s[8:15], s[0:1], 0x20
	s_load_b64 s[22:23], s[0:1], 0x40
	s_mov_b32 s2, ttmp9
	s_mov_b32 s3, 0
	s_mov_b32 s20, exec_lo
	s_lshl_b64 s[4:5], s[2:3], 8
	s_delay_alu instid0(SALU_CYCLE_1) | instskip(NEXT) | instid1(VALU_DEP_1)
	v_dual_mov_b32 v2, s5 :: v_dual_and_b32 v3, 0x3ff, v0
	v_or_b32_e32 v1, s4, v3
	s_wait_kmcnt 0x0
	v_dual_mov_b32 v6, s8 :: v_dual_mov_b32 v7, s9
	v_dual_mov_b32 v4, s10 :: v_dual_mov_b32 v5, s11
	s_delay_alu instid0(VALU_DEP_3)
	v_cmpx_gt_i64_e64 s[16:17], v[1:2]
	s_cbranch_execz .LBB3_4
; %bb.1:
	s_clause 0x1
	s_load_b32 s2, s[0:1], 0x70
	s_load_b128 s[4:7], s[0:1], 0x50
	v_dual_mov_b32 v6, s8 :: v_dual_mov_b32 v7, s9
	v_dual_mov_b32 v4, s10 :: v_dual_mov_b32 v5, s11
	s_wait_kmcnt 0x0
	s_lshl_b64 s[18:19], s[2:3], 8
.LBB3_2:                                ; =>This Inner Loop Header: Depth=1
	v_add_co_u32 v8, vcc_lo, v1, s6
	s_wait_alu 0xfffd
	v_add_co_ci_u32_e64 v9, null, s7, v2, vcc_lo
	v_add_co_u32 v1, s2, s18, v1
	s_wait_alu 0xf1ff
	v_add_co_ci_u32_e64 v2, null, s19, v2, s2
	s_delay_alu instid0(VALU_DEP_3) | instskip(NEXT) | instid1(VALU_DEP_2)
	v_lshlrev_b64_e32 v[10:11], 3, v[8:9]
	v_cmp_le_i64_e64 s2, s[16:17], v[1:2]
	s_delay_alu instid0(VALU_DEP_2) | instskip(SKIP_1) | instid1(VALU_DEP_3)
	v_add_co_u32 v10, vcc_lo, s4, v10
	s_wait_alu 0xfffd
	v_add_co_ci_u32_e64 v11, null, s5, v11, vcc_lo
	s_or_b32 s3, s2, s3
	global_load_b64 v[10:11], v[10:11], off
	s_wait_loadcnt 0x0
	v_cmp_lt_f64_e32 vcc_lo, v[10:11], v[6:7]
	s_wait_alu 0xfffd
	v_dual_cndmask_b32 v7, v7, v11 :: v_dual_cndmask_b32 v6, v6, v10
	v_dual_cndmask_b32 v5, v5, v9 :: v_dual_cndmask_b32 v4, v4, v8
	s_wait_alu 0xfffe
	s_and_not1_b32 exec_lo, exec_lo, s3
	s_cbranch_execnz .LBB3_2
; %bb.3:
	s_or_b32 exec_lo, exec_lo, s3
.LBB3_4:
	s_delay_alu instid0(SALU_CYCLE_1)
	s_or_b32 exec_lo, exec_lo, s20
	s_load_b128 s[4:7], s[0:1], 0x0
	s_wait_kmcnt 0x0
	s_cmp_lg_u64 s[4:5], 0
	s_cbranch_scc0 .LBB3_6
.LBB3_5:
	s_endpgm
.LBB3_6:
	v_mov_b32_e32 v1, 0
	s_mov_b32 s3, 0
	s_load_b96 s[16:18], s[0:1], 0x70
	global_load_b32 v1, v1, s[0:1] offset:126
	s_add_nc_u64 s[0:1], s[0:1], 0x70
	s_wait_kmcnt 0x0
	s_cmp_lt_u32 ttmp9, s16
	s_cselect_b32 s2, 12, 18
	s_wait_alu 0xfffe
	s_add_nc_u64 s[0:1], s[0:1], s[2:3]
	s_load_u16 s0, s[0:1], 0x0
	s_wait_loadcnt 0x0
	v_readfirstlane_b32 s1, v1
	v_bfe_u32 v1, v0, 20, 10
	v_bfe_u32 v0, v0, 10, 10
	s_and_b32 s2, s1, 0xffff
	s_lshr_b32 s1, s1, 16
	s_wait_kmcnt 0x0
	s_wait_alu 0xfffe
	s_mul_i32 s2, s2, s0
	v_mul_u32_u24_e32 v0, s0, v0
	s_wait_alu 0xfffe
	v_mul_lo_u32 v1, s2, v1
	s_mul_i32 s20, s2, s1
	s_delay_alu instid0(SALU_CYCLE_1) | instskip(SKIP_4) | instid1(VALU_DEP_1)
	s_and_b32 s0, s20, 63
	s_ashr_i32 s21, s20, 31
	s_wait_alu 0xfffe
	s_cmp_lg_u32 s0, 0
	s_cselect_b32 s4, -1, 0
	v_add3_u32 v24, v0, v3, v1
	s_cmp_eq_u32 s0, 0
	s_mov_b32 s0, -1
	s_cbranch_scc1 .LBB3_68
; %bb.7:
	s_delay_alu instid0(VALU_DEP_1) | instskip(SKIP_3) | instid1(VALU_DEP_4)
	v_xor_b32_e32 v0, 1, v24
	v_mov_b32_e32 v11, v7
	v_mov_b32_e32 v9, v5
	v_dual_mov_b32 v3, v5 :: v_dual_mov_b32 v8, v4
	v_dual_mov_b32 v2, v4 :: v_dual_and_b32 v1, 31, v0
	v_cmp_gt_i32_e32 vcc_lo, s20, v0
	v_mov_b32_e32 v0, v6
	s_delay_alu instid0(VALU_DEP_3)
	v_dual_mov_b32 v10, v6 :: v_dual_lshlrev_b32 v1, 2, v1
	ds_bpermute_b32 v12, v1, v6
	ds_bpermute_b32 v13, v1, v7
	;; [unrolled: 1-line block ×4, first 2 shown]
	v_mov_b32_e32 v1, v7
	s_and_saveexec_b32 s0, vcc_lo
	s_cbranch_execz .LBB3_9
; %bb.8:
	s_wait_dscnt 0x2
	v_and_b32_e32 v0, 0xff, v13
	v_and_b32_e32 v1, 0xffffff00, v13
	s_delay_alu instid0(VALU_DEP_1) | instskip(NEXT) | instid1(VALU_DEP_1)
	v_or_b32_e32 v13, v0, v1
	v_cmp_gt_f64_e32 vcc_lo, v[6:7], v[12:13]
	s_wait_dscnt 0x0
	v_and_b32_e32 v0, 0xff, v15
	s_wait_alu 0xfffd
	v_dual_cndmask_b32 v10, v6, v12 :: v_dual_and_b32 v1, 0xffffff00, v15
	v_cndmask_b32_e32 v11, v7, v13, vcc_lo
	s_delay_alu instid0(VALU_DEP_2) | instskip(NEXT) | instid1(VALU_DEP_2)
	v_or_b32_e32 v0, v0, v1
	v_dual_cndmask_b32 v2, v4, v14 :: v_dual_mov_b32 v1, v11
	s_delay_alu instid0(VALU_DEP_2) | instskip(NEXT) | instid1(VALU_DEP_1)
	v_dual_cndmask_b32 v3, v5, v0 :: v_dual_mov_b32 v0, v10
	v_dual_mov_b32 v9, v3 :: v_dual_mov_b32 v8, v2
.LBB3_9:
	s_wait_alu 0xfffe
	s_or_b32 exec_lo, exec_lo, s0
	s_wait_dscnt 0x1
	v_xor_b32_e32 v14, 2, v24
	s_mov_b32 s0, exec_lo
	s_delay_alu instid0(VALU_DEP_1) | instskip(SKIP_1) | instid1(VALU_DEP_1)
	v_and_b32_e32 v12, 31, v14
	s_wait_dscnt 0x0
	v_lshlrev_b32_e32 v15, 2, v12
	ds_bpermute_b32 v12, v15, v0
	ds_bpermute_b32 v13, v15, v1
	ds_bpermute_b32 v2, v15, v2
	ds_bpermute_b32 v3, v15, v3
	v_cmpx_gt_i32_e64 s20, v14
	s_cbranch_execz .LBB3_11
; %bb.10:
	s_wait_dscnt 0x2
	v_and_b32_e32 v0, 0xff, v13
	v_and_b32_e32 v1, 0xffffff00, v13
	s_delay_alu instid0(VALU_DEP_1) | instskip(NEXT) | instid1(VALU_DEP_1)
	v_or_b32_e32 v13, v0, v1
	v_cmp_gt_f64_e32 vcc_lo, v[10:11], v[12:13]
	s_wait_dscnt 0x0
	v_and_b32_e32 v0, 0xff, v3
	s_wait_alu 0xfffd
	v_dual_cndmask_b32 v8, v8, v2 :: v_dual_and_b32 v1, 0xffffff00, v3
	v_cndmask_b32_e32 v11, v11, v13, vcc_lo
	s_delay_alu instid0(VALU_DEP_2) | instskip(NEXT) | instid1(VALU_DEP_2)
	v_or_b32_e32 v0, v0, v1
	v_dual_cndmask_b32 v10, v10, v12 :: v_dual_mov_b32 v1, v11
	s_delay_alu instid0(VALU_DEP_1)
	v_dual_cndmask_b32 v9, v9, v0 :: v_dual_mov_b32 v0, v10
.LBB3_11:
	s_wait_alu 0xfffe
	s_or_b32 exec_lo, exec_lo, s0
	v_xor_b32_e32 v14, 4, v24
	s_mov_b32 s0, exec_lo
	s_wait_dscnt 0x1
	s_delay_alu instid0(VALU_DEP_1) | instskip(NEXT) | instid1(VALU_DEP_1)
	v_and_b32_e32 v2, 31, v14
	v_lshlrev_b32_e32 v13, 2, v2
	ds_bpermute_b32 v2, v13, v0
	s_wait_dscnt 0x1
	ds_bpermute_b32 v3, v13, v1
	ds_bpermute_b32 v12, v13, v8
	;; [unrolled: 1-line block ×3, first 2 shown]
	v_cmpx_gt_i32_e64 s20, v14
	s_cbranch_execz .LBB3_13
; %bb.12:
	s_wait_dscnt 0x2
	v_and_b32_e32 v0, 0xff, v3
	v_and_b32_e32 v1, 0xffffff00, v3
	s_delay_alu instid0(VALU_DEP_1) | instskip(NEXT) | instid1(VALU_DEP_1)
	v_or_b32_e32 v3, v0, v1
	v_cmp_gt_f64_e32 vcc_lo, v[10:11], v[2:3]
	s_wait_dscnt 0x0
	v_and_b32_e32 v0, 0xff, v13
	s_wait_alu 0xfffd
	v_dual_cndmask_b32 v8, v8, v12 :: v_dual_and_b32 v1, 0xffffff00, v13
	s_delay_alu instid0(VALU_DEP_1) | instskip(SKIP_1) | instid1(VALU_DEP_2)
	v_or_b32_e32 v13, v0, v1
	v_dual_cndmask_b32 v1, v11, v3 :: v_dual_cndmask_b32 v0, v10, v2
	v_cndmask_b32_e32 v9, v9, v13, vcc_lo
	s_delay_alu instid0(VALU_DEP_2)
	v_dual_mov_b32 v11, v1 :: v_dual_mov_b32 v10, v0
.LBB3_13:
	s_wait_alu 0xfffe
	s_or_b32 exec_lo, exec_lo, s0
	v_xor_b32_e32 v14, 8, v24
	s_mov_b32 s0, exec_lo
	s_wait_dscnt 0x3
	s_delay_alu instid0(VALU_DEP_1) | instskip(SKIP_1) | instid1(VALU_DEP_1)
	v_and_b32_e32 v2, 31, v14
	s_wait_dscnt 0x0
	v_lshlrev_b32_e32 v13, 2, v2
	ds_bpermute_b32 v2, v13, v0
	ds_bpermute_b32 v3, v13, v1
	;; [unrolled: 1-line block ×4, first 2 shown]
	v_cmpx_gt_i32_e64 s20, v14
	s_cbranch_execz .LBB3_15
; %bb.14:
	s_wait_dscnt 0x2
	v_and_b32_e32 v0, 0xff, v3
	v_and_b32_e32 v1, 0xffffff00, v3
	s_delay_alu instid0(VALU_DEP_1) | instskip(NEXT) | instid1(VALU_DEP_1)
	v_or_b32_e32 v3, v0, v1
	v_cmp_gt_f64_e32 vcc_lo, v[10:11], v[2:3]
	s_wait_dscnt 0x0
	v_and_b32_e32 v0, 0xff, v13
	s_wait_alu 0xfffd
	v_dual_cndmask_b32 v8, v8, v12 :: v_dual_and_b32 v1, 0xffffff00, v13
	s_delay_alu instid0(VALU_DEP_1) | instskip(SKIP_1) | instid1(VALU_DEP_2)
	v_or_b32_e32 v13, v0, v1
	v_dual_cndmask_b32 v1, v11, v3 :: v_dual_cndmask_b32 v0, v10, v2
	v_cndmask_b32_e32 v9, v9, v13, vcc_lo
	s_delay_alu instid0(VALU_DEP_2)
	v_dual_mov_b32 v11, v1 :: v_dual_mov_b32 v10, v0
.LBB3_15:
	s_wait_alu 0xfffe
	s_or_b32 exec_lo, exec_lo, s0
	v_xor_b32_e32 v14, 16, v24
	s_mov_b32 s0, exec_lo
	s_wait_dscnt 0x3
	s_delay_alu instid0(VALU_DEP_1) | instskip(SKIP_1) | instid1(VALU_DEP_1)
	v_and_b32_e32 v2, 31, v14
	s_wait_dscnt 0x0
	v_lshlrev_b32_e32 v13, 2, v2
	ds_bpermute_b32 v2, v13, v0
	ds_bpermute_b32 v3, v13, v1
	;; [unrolled: 1-line block ×4, first 2 shown]
	v_cmpx_gt_i32_e64 s20, v14
	s_cbranch_execz .LBB3_17
; %bb.16:
	s_wait_dscnt 0x2
	v_and_b32_e32 v0, 0xff, v3
	v_and_b32_e32 v1, 0xffffff00, v3
	s_delay_alu instid0(VALU_DEP_1) | instskip(NEXT) | instid1(VALU_DEP_1)
	v_or_b32_e32 v3, v0, v1
	v_cmp_gt_f64_e32 vcc_lo, v[10:11], v[2:3]
	s_wait_dscnt 0x0
	v_and_b32_e32 v0, 0xff, v13
	s_wait_alu 0xfffd
	v_dual_cndmask_b32 v8, v8, v12 :: v_dual_and_b32 v1, 0xffffff00, v13
	s_delay_alu instid0(VALU_DEP_1) | instskip(SKIP_1) | instid1(VALU_DEP_2)
	v_or_b32_e32 v13, v0, v1
	v_dual_cndmask_b32 v1, v11, v3 :: v_dual_cndmask_b32 v0, v10, v2
	v_cndmask_b32_e32 v9, v9, v13, vcc_lo
	s_delay_alu instid0(VALU_DEP_2)
	v_dual_mov_b32 v11, v1 :: v_dual_mov_b32 v10, v0
.LBB3_17:
	s_wait_alu 0xfffe
	s_or_b32 exec_lo, exec_lo, s0
	s_wait_dscnt 0x3
	v_lshlrev_b32_e32 v2, 2, v24
	s_wait_dscnt 0x1
	v_xor_b32_e32 v12, 32, v24
	s_mov_b32 s0, exec_lo
	s_delay_alu instid0(VALU_DEP_2)
	v_and_b32_e32 v3, 0x7c, v2
	ds_bpermute_b32 v0, v3, v0
	ds_bpermute_b32 v1, v3, v1
	;; [unrolled: 1-line block ×4, first 2 shown]
	v_cmpx_gt_i32_e64 s20, v12
	s_cbranch_execz .LBB3_19
; %bb.18:
	s_wait_dscnt 0x2
	v_and_b32_e32 v12, 0xff, v1
	v_and_b32_e32 v1, 0xffffff00, v1
	s_delay_alu instid0(VALU_DEP_1) | instskip(NEXT) | instid1(VALU_DEP_1)
	v_or_b32_e32 v1, v12, v1
	v_cmp_gt_f64_e32 vcc_lo, v[10:11], v[0:1]
	s_wait_dscnt 0x0
	v_and_b32_e32 v12, 0xff, v3
	s_wait_alu 0xfffd
	v_dual_cndmask_b32 v8, v8, v2 :: v_dual_and_b32 v3, 0xffffff00, v3
	v_cndmask_b32_e32 v11, v11, v1, vcc_lo
	s_delay_alu instid0(VALU_DEP_2) | instskip(NEXT) | instid1(VALU_DEP_1)
	v_or_b32_e32 v3, v12, v3
	v_dual_cndmask_b32 v10, v10, v0 :: v_dual_cndmask_b32 v9, v9, v3
.LBB3_19:
	s_wait_alu 0xfffe
	s_or_b32 exec_lo, exec_lo, s0
	v_mbcnt_lo_u32_b32 v25, -1, 0
	s_branch .LBB3_21
.LBB3_20:
	s_wait_dscnt 0x3
	v_xor_b32_e32 v0, 1, v25
	s_delay_alu instid0(VALU_DEP_1) | instskip(SKIP_2) | instid1(VALU_DEP_1)
	v_cmp_gt_i32_e32 vcc_lo, 32, v0
	s_wait_alu 0xfffd
	v_cndmask_b32_e32 v0, v25, v0, vcc_lo
	v_lshlrev_b32_e32 v8, 2, v0
	s_wait_dscnt 0x2
	ds_bpermute_b32 v1, v8, v7
	ds_bpermute_b32 v0, v8, v6
	s_wait_dscnt 0x1
	v_and_b32_e32 v2, 0xff, v1
	v_and_b32_e32 v1, 0xffffff00, v1
	s_delay_alu instid0(VALU_DEP_1) | instskip(SKIP_2) | instid1(VALU_DEP_2)
	v_or_b32_e32 v1, v2, v1
	v_xor_b32_e32 v2, 2, v25
	s_wait_dscnt 0x0
	v_cmp_gt_f64_e32 vcc_lo, v[6:7], v[0:1]
	s_delay_alu instid0(VALU_DEP_2) | instskip(SKIP_1) | instid1(VALU_DEP_1)
	v_cmp_gt_i32_e64 s0, 32, v2
	s_wait_alu 0xf1ff
	v_cndmask_b32_e64 v2, v25, v2, s0
	s_wait_alu 0xfffd
	s_delay_alu instid0(VALU_DEP_1)
	v_dual_cndmask_b32 v0, v6, v0 :: v_dual_lshlrev_b32 v9, 2, v2
	v_cndmask_b32_e32 v1, v7, v1, vcc_lo
	ds_bpermute_b32 v12, v8, v5
	ds_bpermute_b32 v8, v8, v4
	;; [unrolled: 1-line block ×4, first 2 shown]
	s_wait_dscnt 0x3
	v_and_b32_e32 v13, 0xff, v12
	v_and_b32_e32 v12, 0xffffff00, v12
	s_wait_dscnt 0x2
	v_cndmask_b32_e32 v8, v4, v8, vcc_lo
	s_wait_dscnt 0x0
	v_and_b32_e32 v10, 0xff, v3
	v_or_b32_e32 v12, v13, v12
	s_delay_alu instid0(VALU_DEP_1) | instskip(NEXT) | instid1(VALU_DEP_1)
	v_dual_cndmask_b32 v12, v5, v12 :: v_dual_and_b32 v3, 0xffffff00, v3
	v_or_b32_e32 v3, v10, v3
	v_xor_b32_e32 v10, 4, v25
	ds_bpermute_b32 v13, v9, v12
	v_cmp_gt_f64_e64 s0, v[0:1], v[2:3]
	v_cmp_gt_i32_e64 s1, 32, v10
	ds_bpermute_b32 v9, v9, v8
	s_wait_alu 0xf1ff
	v_cndmask_b32_e64 v10, v25, v10, s1
	s_delay_alu instid0(VALU_DEP_1)
	v_lshlrev_b32_e32 v10, 2, v10
	v_cndmask_b32_e64 v1, v1, v3, s0
	v_cndmask_b32_e64 v0, v0, v2, s0
	s_wait_dscnt 0x0
	v_cndmask_b32_e64 v8, v8, v9, s0
	ds_bpermute_b32 v3, v10, v1
	ds_bpermute_b32 v2, v10, v0
	;; [unrolled: 1-line block ×3, first 2 shown]
	s_wait_dscnt 0x2
	v_and_b32_e32 v11, 0xff, v3
	v_and_b32_e32 v3, 0xffffff00, v3
	s_delay_alu instid0(VALU_DEP_1) | instskip(SKIP_2) | instid1(VALU_DEP_2)
	v_or_b32_e32 v3, v11, v3
	v_xor_b32_e32 v11, 8, v25
	s_wait_dscnt 0x1
	v_cmp_gt_f64_e64 s1, v[0:1], v[2:3]
	s_delay_alu instid0(VALU_DEP_2) | instskip(SKIP_1) | instid1(VALU_DEP_1)
	v_cmp_gt_i32_e64 s2, 32, v11
	s_wait_alu 0xf1ff
	v_cndmask_b32_e64 v11, v25, v11, s2
	s_delay_alu instid0(VALU_DEP_1) | instskip(NEXT) | instid1(VALU_DEP_4)
	v_lshlrev_b32_e32 v11, 2, v11
	v_cndmask_b32_e64 v1, v1, v3, s1
	v_cndmask_b32_e64 v0, v0, v2, s1
	s_wait_dscnt 0x0
	v_cndmask_b32_e64 v8, v8, v9, s1
	ds_bpermute_b32 v3, v11, v1
	ds_bpermute_b32 v2, v11, v0
	s_wait_dscnt 0x1
	v_and_b32_e32 v14, 0xff, v3
	v_and_b32_e32 v3, 0xffffff00, v3
	s_delay_alu instid0(VALU_DEP_1) | instskip(SKIP_3) | instid1(VALU_DEP_3)
	v_or_b32_e32 v3, v14, v3
	v_and_b32_e32 v14, 0xff, v13
	v_and_b32_e32 v13, 0xffffff00, v13
	s_wait_dscnt 0x0
	v_cmp_gt_f64_e64 s2, v[0:1], v[2:3]
	s_delay_alu instid0(VALU_DEP_2) | instskip(SKIP_1) | instid1(VALU_DEP_2)
	v_or_b32_e32 v13, v14, v13
	v_xor_b32_e32 v14, 16, v25
	v_cndmask_b32_e64 v12, v12, v13, s0
	s_delay_alu instid0(VALU_DEP_2) | instskip(SKIP_1) | instid1(VALU_DEP_1)
	v_cmp_gt_i32_e64 s3, 32, v14
	s_wait_alu 0xf1ff
	v_cndmask_b32_e64 v13, v25, v14, s3
	ds_bpermute_b32 v14, v10, v12
	v_or_b32_e32 v10, 32, v25
	v_lshlrev_b32_e32 v13, 2, v13
	s_delay_alu instid0(VALU_DEP_2) | instskip(SKIP_1) | instid1(VALU_DEP_1)
	v_cmp_gt_i32_e64 s0, 32, v10
	s_wait_alu 0xf1ff
	v_cndmask_b32_e64 v10, v25, v10, s0
	s_delay_alu instid0(VALU_DEP_1)
	v_lshlrev_b32_e32 v10, 2, v10
	s_wait_dscnt 0x0
	v_and_b32_e32 v15, 0xff, v14
	v_and_b32_e32 v14, 0xffffff00, v14
	v_cndmask_b32_e64 v1, v1, v3, s2
	v_cndmask_b32_e64 v0, v0, v2, s2
	s_delay_alu instid0(VALU_DEP_3)
	v_or_b32_e32 v14, v15, v14
	ds_bpermute_b32 v3, v13, v1
	ds_bpermute_b32 v2, v13, v0
	v_cndmask_b32_e64 v12, v12, v14, s1
	ds_bpermute_b32 v14, v11, v12
	s_wait_dscnt 0x2
	v_and_b32_e32 v15, 0xff, v3
	v_and_b32_e32 v3, 0xffffff00, v3
	s_delay_alu instid0(VALU_DEP_1) | instskip(SKIP_3) | instid1(VALU_DEP_3)
	v_or_b32_e32 v3, v15, v3
	s_wait_dscnt 0x0
	v_and_b32_e32 v15, 0xff, v14
	v_and_b32_e32 v14, 0xffffff00, v14
	v_cmp_gt_f64_e32 vcc_lo, v[0:1], v[2:3]
	s_delay_alu instid0(VALU_DEP_2) | instskip(NEXT) | instid1(VALU_DEP_1)
	v_or_b32_e32 v14, v15, v14
	v_cndmask_b32_e64 v9, v12, v14, s2
	ds_bpermute_b32 v12, v13, v9
	s_wait_dscnt 0x0
	v_and_b32_e32 v14, 0xff, v12
	s_wait_alu 0xfffd
	v_dual_cndmask_b32 v1, v1, v3 :: v_dual_and_b32 v12, 0xffffff00, v12
	ds_bpermute_b32 v3, v11, v8
	v_cndmask_b32_e32 v0, v0, v2, vcc_lo
	ds_bpermute_b32 v11, v10, v1
	ds_bpermute_b32 v2, v10, v0
	s_wait_dscnt 0x2
	v_cndmask_b32_e64 v8, v8, v3, s2
	s_wait_dscnt 0x1
	v_and_b32_e32 v3, 0xff, v11
	v_and_b32_e32 v11, 0xffffff00, v11
	ds_bpermute_b32 v13, v13, v8
	v_or_b32_e32 v3, v3, v11
	v_or_b32_e32 v11, v14, v12
	s_wait_dscnt 0x1
	s_delay_alu instid0(VALU_DEP_2) | instskip(NEXT) | instid1(VALU_DEP_2)
	v_cmp_gt_f64_e64 s0, v[0:1], v[2:3]
	v_cndmask_b32_e32 v9, v9, v11, vcc_lo
	ds_bpermute_b32 v11, v10, v9
	s_wait_dscnt 0x1
	v_cndmask_b32_e32 v8, v8, v13, vcc_lo
	ds_bpermute_b32 v12, v10, v8
	s_wait_dscnt 0x1
	v_and_b32_e32 v10, 0xff, v11
	v_and_b32_e32 v11, 0xffffff00, v11
	s_delay_alu instid0(VALU_DEP_1) | instskip(SKIP_3) | instid1(VALU_DEP_3)
	v_or_b32_e32 v13, v10, v11
	s_wait_alu 0xf1ff
	v_cndmask_b32_e64 v11, v1, v3, s0
	v_cndmask_b32_e64 v10, v0, v2, s0
	v_cndmask_b32_e64 v9, v9, v13, s0
	s_wait_dscnt 0x0
	v_cndmask_b32_e64 v8, v8, v12, s0
.LBB3_21:
	v_ashrrev_i32_e32 v26, 31, v24
	s_cmp_gt_i32 s20, 64
	s_cselect_b32 s19, -1, 0
	s_cmp_lt_i32 s20, 0x41
	s_wait_dscnt 0x3
	v_lshrrev_b32_e32 v0, 26, v26
	s_delay_alu instid0(VALU_DEP_1) | instskip(SKIP_1) | instid1(VALU_DEP_1)
	v_add_nc_u32_e32 v0, v24, v0
	s_wait_dscnt 0x2
	v_and_b32_e32 v1, 0xffffffc0, v0
	v_ashrrev_i32_e32 v27, 6, v0
	s_delay_alu instid0(VALU_DEP_2) | instskip(NEXT) | instid1(VALU_DEP_1)
	v_sub_nc_u32_e32 v12, v24, v1
	v_ashrrev_i32_e32 v13, 31, v12
	s_cbranch_scc1 .LBB3_29
; %bb.22:
	s_mov_b32 s0, exec_lo
	v_cmpx_eq_u32_e32 0, v12
; %bb.23:
	v_lshlrev_b32_e32 v0, 3, v27
	ds_store_2addr_b64 v0, v[10:11], v[8:9] offset1:16
; %bb.24:
	s_wait_alu 0xfffe
	s_or_b32 exec_lo, exec_lo, s0
	v_add_co_u32 v0, vcc_lo, v24, 63
	s_wait_alu 0xfffd
	v_add_co_ci_u32_e64 v1, null, 0, v26, vcc_lo
	s_mov_b32 s3, exec_lo
	s_wait_dscnt 0x0
	s_barrier_signal -1
	s_barrier_wait -1
	global_inv scope:SCOPE_SE
	v_cmpx_gt_u64_e32 0x7f, v[0:1]
	s_cbranch_execz .LBB3_28
; %bb.25:
	v_lshlrev_b64_e32 v[0:1], 6, v[12:13]
	v_dual_mov_b32 v2, s10 :: v_dual_mov_b32 v3, s11
	s_delay_alu instid0(VALU_DEP_2)
	v_cmp_gt_i64_e32 vcc_lo, s[20:21], v[0:1]
	v_dual_mov_b32 v0, s8 :: v_dual_mov_b32 v1, s9
	s_and_saveexec_b32 s0, vcc_lo
; %bb.26:
	v_lshlrev_b32_e32 v0, 3, v12
	ds_load_2addr_b64 v[0:3], v0 offset1:16
; %bb.27:
	s_wait_alu 0xfffe
	s_or_b32 exec_lo, exec_lo, s0
	v_xor_b32_e32 v8, 1, v25
	s_delay_alu instid0(VALU_DEP_1) | instskip(SKIP_2) | instid1(VALU_DEP_1)
	v_cmp_gt_i32_e32 vcc_lo, 32, v8
	s_wait_alu 0xfffd
	v_cndmask_b32_e32 v8, v25, v8, vcc_lo
	v_lshlrev_b32_e32 v10, 2, v8
	s_wait_dscnt 0x0
	ds_bpermute_b32 v9, v10, v1
	ds_bpermute_b32 v8, v10, v0
	s_wait_dscnt 0x1
	v_and_b32_e32 v11, 0xff, v9
	v_and_b32_e32 v9, 0xffffff00, v9
	s_delay_alu instid0(VALU_DEP_1) | instskip(SKIP_2) | instid1(VALU_DEP_2)
	v_or_b32_e32 v9, v11, v9
	v_xor_b32_e32 v11, 2, v25
	s_wait_dscnt 0x0
	v_cmp_gt_f64_e32 vcc_lo, v[0:1], v[8:9]
	s_delay_alu instid0(VALU_DEP_2) | instskip(SKIP_1) | instid1(VALU_DEP_1)
	v_cmp_gt_i32_e64 s0, 32, v11
	s_wait_alu 0xf1ff
	v_cndmask_b32_e64 v11, v25, v11, s0
	s_wait_alu 0xfffd
	v_cndmask_b32_e32 v1, v1, v9, vcc_lo
	ds_bpermute_b32 v15, v10, v3
	ds_bpermute_b32 v10, v10, v2
	v_dual_cndmask_b32 v0, v0, v8 :: v_dual_lshlrev_b32 v11, 2, v11
	s_wait_dscnt 0x1
	v_and_b32_e32 v16, 0xff, v15
	s_wait_dscnt 0x0
	v_cndmask_b32_e32 v10, v2, v10, vcc_lo
	ds_bpermute_b32 v9, v11, v1
	ds_bpermute_b32 v8, v11, v0
	v_and_b32_e32 v15, 0xffffff00, v15
	s_delay_alu instid0(VALU_DEP_1) | instskip(NEXT) | instid1(VALU_DEP_1)
	v_or_b32_e32 v15, v16, v15
	v_cndmask_b32_e32 v3, v3, v15, vcc_lo
	ds_bpermute_b32 v15, v11, v3
	s_wait_dscnt 0x2
	v_and_b32_e32 v14, 0xff, v9
	v_and_b32_e32 v9, 0xffffff00, v9
	s_delay_alu instid0(VALU_DEP_1) | instskip(SKIP_2) | instid1(VALU_DEP_2)
	v_or_b32_e32 v9, v14, v9
	v_xor_b32_e32 v14, 4, v25
	s_wait_dscnt 0x1
	v_cmp_gt_f64_e64 s0, v[0:1], v[8:9]
	s_delay_alu instid0(VALU_DEP_2) | instskip(SKIP_1) | instid1(VALU_DEP_1)
	v_cmp_gt_i32_e64 s1, 32, v14
	s_wait_alu 0xf1ff
	v_cndmask_b32_e64 v14, v25, v14, s1
	s_wait_dscnt 0x0
	v_and_b32_e32 v17, 0xff, v15
	v_and_b32_e32 v15, 0xffffff00, v15
	s_delay_alu instid0(VALU_DEP_3) | instskip(NEXT) | instid1(VALU_DEP_2)
	v_lshlrev_b32_e32 v14, 2, v14
	v_or_b32_e32 v15, v17, v15
	v_cndmask_b32_e64 v1, v1, v9, s0
	v_cndmask_b32_e64 v0, v0, v8, s0
	ds_bpermute_b32 v9, v14, v1
	ds_bpermute_b32 v8, v14, v0
	s_wait_dscnt 0x1
	v_and_b32_e32 v16, 0xff, v9
	v_and_b32_e32 v9, 0xffffff00, v9
	s_delay_alu instid0(VALU_DEP_1) | instskip(SKIP_2) | instid1(VALU_DEP_2)
	v_or_b32_e32 v9, v16, v9
	v_xor_b32_e32 v16, 8, v25
	s_wait_dscnt 0x0
	v_cmp_gt_f64_e64 s1, v[0:1], v[8:9]
	s_delay_alu instid0(VALU_DEP_2) | instskip(SKIP_1) | instid1(VALU_DEP_1)
	v_cmp_gt_i32_e64 s2, 32, v16
	s_wait_alu 0xf1ff
	v_cndmask_b32_e64 v16, v25, v16, s2
	s_delay_alu instid0(VALU_DEP_1) | instskip(NEXT) | instid1(VALU_DEP_4)
	v_lshlrev_b32_e32 v16, 2, v16
	v_cndmask_b32_e64 v1, v1, v9, s1
	v_cndmask_b32_e64 v9, v3, v15, s0
	ds_bpermute_b32 v3, v11, v10
	v_cndmask_b32_e64 v0, v0, v8, s1
	ds_bpermute_b32 v11, v16, v1
	ds_bpermute_b32 v15, v14, v9
	;; [unrolled: 1-line block ×3, first 2 shown]
	s_wait_dscnt 0x3
	v_cndmask_b32_e64 v8, v10, v3, s0
	s_wait_dscnt 0x2
	v_and_b32_e32 v3, 0xff, v11
	v_and_b32_e32 v10, 0xffffff00, v11
	s_wait_dscnt 0x1
	v_and_b32_e32 v11, 0xff, v15
	v_and_b32_e32 v15, 0xffffff00, v15
	s_delay_alu instid0(VALU_DEP_3) | instskip(NEXT) | instid1(VALU_DEP_2)
	v_or_b32_e32 v3, v3, v10
	v_or_b32_e32 v10, v11, v15
	s_wait_dscnt 0x0
	s_delay_alu instid0(VALU_DEP_2) | instskip(NEXT) | instid1(VALU_DEP_2)
	v_cmp_gt_f64_e32 vcc_lo, v[0:1], v[2:3]
	v_cndmask_b32_e64 v9, v9, v10, s1
	ds_bpermute_b32 v10, v16, v9
	s_wait_dscnt 0x0
	v_and_b32_e32 v11, 0xff, v10
	v_and_b32_e32 v10, 0xffffff00, v10
	s_delay_alu instid0(VALU_DEP_1)
	v_or_b32_e32 v15, v11, v10
	s_wait_alu 0xfffd
	v_cndmask_b32_e32 v11, v1, v3, vcc_lo
	ds_bpermute_b32 v14, v14, v8
	v_dual_cndmask_b32 v10, v0, v2 :: v_dual_cndmask_b32 v9, v9, v15
	s_wait_dscnt 0x0
	v_cndmask_b32_e64 v8, v8, v14, s1
	ds_bpermute_b32 v14, v16, v8
	s_wait_dscnt 0x0
	v_cndmask_b32_e32 v8, v8, v14, vcc_lo
.LBB3_28:
	s_wait_alu 0xfffe
	s_or_b32 exec_lo, exec_lo, s3
	s_wait_loadcnt 0x0
	s_barrier_signal -1
	s_barrier_wait -1
	global_inv scope:SCOPE_SE
.LBB3_29:
	s_and_b32 s0, ttmp7, 0xffff
	s_mul_i32 s1, s17, s16
	s_wait_alu 0xfffe
	s_lshr_b32 s2, ttmp7, 16
	s_mul_i32 s0, s16, s0
	s_wait_alu 0xfffe
	s_mul_i32 s2, s1, s2
	s_add_co_i32 s0, s0, ttmp9
	s_mul_i32 s1, s18, s1
	s_wait_alu 0xfffe
	s_add_co_i32 s0, s0, s2
	s_ashr_i32 s3, s1, 31
	s_wait_alu 0xfffe
	s_ashr_i32 s2, s0, 31
	s_lshr_b32 s3, s3, 27
	s_wait_alu 0xfffe
	s_lshr_b32 s2, s2, 27
	s_wait_alu 0xfffe
	s_add_co_i32 s16, s0, s2
	s_add_co_i32 s2, s1, s3
	s_wait_alu 0xfffe
	s_and_b32 s3, s16, 0xffffffe0
	s_and_b32 s17, s2, 0xffffffe0
	s_wait_alu 0xfffe
	s_sub_co_i32 s5, s0, s3
	s_sub_co_i32 s0, s1, s17
	s_ashr_i32 s2, s2, 5
	s_wait_alu 0xfffe
	s_cmp_lt_i32 s5, s0
	s_cselect_b32 s0, -1, 0
	s_wait_alu 0xfffe
	s_cmp_lg_u32 s0, 0
	v_cmp_eq_u32_e64 s0, 0, v24
	s_add_co_ci_u32 s2, s2, 0
	s_wait_alu 0xfffe
	s_cmp_gt_u32 s2, 1
	s_cbranch_scc0 .LBB3_62
; %bb.30:
	s_add_co_i32 s1, s1, 31
	s_wait_alu 0xfffe
	s_ashr_i32 s3, s1, 31
	s_wait_alu 0xfffe
	s_lshr_b32 s3, s3, 27
	s_wait_alu 0xfffe
	s_add_co_i32 s1, s1, s3
	s_wait_alu 0xfffe
	s_ashr_i32 s3, s1, 5
	s_wait_alu 0xfffe
	s_mul_i32 s3, s3, s5
	s_and_saveexec_b32 s1, s0
	s_cbranch_execz .LBB3_32
; %bb.31:
	s_ashr_i32 s16, s16, 5
	s_add_co_i32 s18, s2, -1
	s_wait_alu 0xfffe
	s_add_co_i32 s16, s3, s16
	v_dual_mov_b32 v0, 0 :: v_dual_mov_b32 v1, s18
	s_wait_alu 0xfffe
	s_ashr_i32 s17, s16, 31
	s_lshl_b32 s24, s5, 2
	s_wait_alu 0xfffe
	s_lshl_b64 s[16:17], s[16:17], 3
	s_ashr_i32 s25, s24, 31
	s_wait_alu 0xfffe
	s_add_nc_u64 s[26:27], s[14:15], s[16:17]
	s_add_nc_u64 s[16:17], s[22:23], s[16:17]
	s_clause 0x1
	global_store_b64 v0, v[10:11], s[26:27] scope:SCOPE_DEV
	global_store_b64 v0, v[8:9], s[16:17] scope:SCOPE_DEV
	s_lshl_b64 s[16:17], s[24:25], 2
	s_wait_storecnt 0x0
	s_wait_loadcnt_dscnt 0x0
	s_wait_alu 0xfffe
	s_add_nc_u64 s[12:13], s[12:13], s[16:17]
	s_waitcnt vmcnt(3) expcnt(0) lgkmcnt(55)
	global_atomic_inc_u32 v1, v0, v1, s[12:13] th:TH_ATOMIC_RETURN scope:SCOPE_DEV
	s_wait_loadcnt 0x0
	v_cmp_eq_u32_e32 vcc_lo, s18, v1
	s_wait_alu 0xfffd
	v_cndmask_b32_e64 v1, 0, 1, vcc_lo
	ds_store_b8 v0, v1 offset:256
.LBB3_32:
	s_wait_alu 0xfffe
	s_or_b32 exec_lo, exec_lo, s1
	v_mov_b32_e32 v0, 0
	s_wait_dscnt 0x0
	v_mov_b32_e32 v2, v4
	s_wait_loadcnt 0x0
	s_barrier_signal -1
	s_barrier_wait -1
	global_inv scope:SCOPE_SE
	v_mov_b32_e32 v3, v5
	ds_load_u8 v0, v0 offset:256
	s_mov_b32 s1, 0
	s_wait_dscnt 0x0
	v_and_b32_e32 v0, 1, v0
	s_delay_alu instid0(VALU_DEP_1)
	v_cmp_eq_u32_e32 vcc_lo, 0, v0
	v_dual_mov_b32 v0, v6 :: v_dual_mov_b32 v1, v7
	s_cbranch_vccnz .LBB3_61
; %bb.33:
	v_dual_mov_b32 v2, s8 :: v_dual_mov_b32 v3, s9
	v_dual_mov_b32 v0, s10 :: v_dual_mov_b32 v1, s11
	s_mov_b32 s12, exec_lo
	s_wait_loadcnt 0x0
	global_inv scope:SCOPE_SE
	v_cmpx_gt_u32_e64 s2, v24
	s_cbranch_execz .LBB3_37
; %bb.34:
	v_dual_mov_b32 v2, s8 :: v_dual_mov_b32 v3, s9
	v_dual_mov_b32 v0, s10 :: v_dual_mov_b32 v1, s11
	v_dual_mov_b32 v15, 0 :: v_dual_mov_b32 v16, v24
	s_mov_b32 s13, 0
.LBB3_35:                               ; =>This Inner Loop Header: Depth=1
	s_delay_alu instid0(VALU_DEP_1) | instskip(SKIP_1) | instid1(VALU_DEP_2)
	v_add_nc_u32_e32 v14, s3, v16
	v_add_nc_u32_e32 v16, s20, v16
	v_lshlrev_b64_e32 v[17:18], 3, v[14:15]
	s_delay_alu instid0(VALU_DEP_2)
	v_cmp_le_u32_e64 s1, s2, v16
	s_wait_alu 0xfffe
	s_or_b32 s13, s1, s13
	v_add_co_u32 v19, vcc_lo, s14, v17
	s_wait_alu 0xfffd
	v_add_co_ci_u32_e64 v20, null, s15, v18, vcc_lo
	v_add_co_u32 v17, vcc_lo, s22, v17
	s_wait_alu 0xfffd
	v_add_co_ci_u32_e64 v18, null, s23, v18, vcc_lo
	global_load_b64 v[19:20], v[19:20], off scope:SCOPE_DEV
	global_load_b64 v[17:18], v[17:18], off scope:SCOPE_DEV
	s_wait_loadcnt 0x1
	v_cmp_gt_f64_e32 vcc_lo, v[2:3], v[19:20]
	s_wait_alu 0xfffd
	v_dual_cndmask_b32 v3, v3, v20 :: v_dual_cndmask_b32 v2, v2, v19
	s_wait_loadcnt 0x0
	v_dual_cndmask_b32 v1, v1, v18 :: v_dual_cndmask_b32 v0, v0, v17
	s_and_not1_b32 exec_lo, exec_lo, s13
	s_cbranch_execnz .LBB3_35
; %bb.36:
	s_or_b32 exec_lo, exec_lo, s13
.LBB3_37:
	s_delay_alu instid0(SALU_CYCLE_1) | instskip(NEXT) | instid1(SALU_CYCLE_1)
	s_or_b32 exec_lo, exec_lo, s12
	s_and_not1_b32 vcc_lo, exec_lo, s4
	s_wait_alu 0xfffe
	s_cbranch_vccnz .LBB3_69
; %bb.38:
	v_xor_b32_e32 v14, 1, v24
	v_dual_mov_b32 v17, v3 :: v_dual_mov_b32 v18, v2
	v_mov_b32_e32 v21, v1
	v_mov_b32_e32 v19, v3
	s_delay_alu instid0(VALU_DEP_4) | instskip(SKIP_1) | instid1(VALU_DEP_2)
	v_dual_mov_b32 v20, v0 :: v_dual_and_b32 v15, 31, v14
	v_cmp_gt_i32_e32 vcc_lo, s20, v14
	v_dual_mov_b32 v16, v2 :: v_dual_lshlrev_b32 v15, 2, v15
	ds_bpermute_b32 v22, v15, v2
	ds_bpermute_b32 v23, v15, v3
	;; [unrolled: 1-line block ×4, first 2 shown]
	v_dual_mov_b32 v15, v1 :: v_dual_mov_b32 v14, v0
	s_and_saveexec_b32 s1, vcc_lo
	s_cbranch_execz .LBB3_40
; %bb.39:
	s_wait_dscnt 0x2
	v_and_b32_e32 v14, 0xff, v23
	v_and_b32_e32 v15, 0xffffff00, v23
	s_delay_alu instid0(VALU_DEP_1) | instskip(NEXT) | instid1(VALU_DEP_1)
	v_or_b32_e32 v23, v14, v15
	v_cmp_gt_f64_e32 vcc_lo, v[2:3], v[22:23]
	s_wait_dscnt 0x0
	v_and_b32_e32 v14, 0xff, v29
	s_wait_alu 0xfffd
	v_dual_cndmask_b32 v16, v2, v22 :: v_dual_and_b32 v15, 0xffffff00, v29
	v_cndmask_b32_e32 v17, v3, v23, vcc_lo
	s_delay_alu instid0(VALU_DEP_2) | instskip(SKIP_1) | instid1(VALU_DEP_3)
	v_or_b32_e32 v14, v14, v15
	v_cndmask_b32_e32 v20, v0, v28, vcc_lo
	v_dual_mov_b32 v18, v16 :: v_dual_mov_b32 v19, v17
	s_delay_alu instid0(VALU_DEP_3) | instskip(NEXT) | instid1(VALU_DEP_1)
	v_cndmask_b32_e32 v21, v1, v14, vcc_lo
	v_dual_mov_b32 v14, v20 :: v_dual_mov_b32 v15, v21
.LBB3_40:
	s_wait_alu 0xfffe
	s_or_b32 exec_lo, exec_lo, s1
	s_wait_dscnt 0x1
	v_xor_b32_e32 v28, 2, v24
	s_mov_b32 s1, exec_lo
	s_delay_alu instid0(VALU_DEP_1) | instskip(SKIP_1) | instid1(VALU_DEP_1)
	v_and_b32_e32 v22, 31, v28
	s_wait_dscnt 0x0
	v_lshlrev_b32_e32 v29, 2, v22
	ds_bpermute_b32 v22, v29, v18
	ds_bpermute_b32 v23, v29, v19
	;; [unrolled: 1-line block ×4, first 2 shown]
	v_cmpx_gt_i32_e64 s20, v28
	s_cbranch_execz .LBB3_42
; %bb.41:
	s_wait_dscnt 0x2
	v_and_b32_e32 v18, 0xff, v23
	v_and_b32_e32 v19, 0xffffff00, v23
	s_delay_alu instid0(VALU_DEP_1) | instskip(NEXT) | instid1(VALU_DEP_1)
	v_or_b32_e32 v23, v18, v19
	v_cmp_gt_f64_e32 vcc_lo, v[16:17], v[22:23]
	s_wait_dscnt 0x0
	v_and_b32_e32 v18, 0xff, v21
	s_wait_alu 0xfffd
	v_dual_cndmask_b32 v14, v14, v20 :: v_dual_and_b32 v19, 0xffffff00, v21
	v_cndmask_b32_e32 v17, v17, v23, vcc_lo
	s_delay_alu instid0(VALU_DEP_2) | instskip(NEXT) | instid1(VALU_DEP_2)
	v_or_b32_e32 v18, v18, v19
	v_dual_cndmask_b32 v16, v16, v22 :: v_dual_mov_b32 v19, v17
	s_delay_alu instid0(VALU_DEP_1)
	v_dual_cndmask_b32 v15, v15, v18 :: v_dual_mov_b32 v18, v16
.LBB3_42:
	s_wait_alu 0xfffe
	s_or_b32 exec_lo, exec_lo, s1
	v_xor_b32_e32 v28, 4, v24
	s_mov_b32 s1, exec_lo
	s_wait_dscnt 0x1
	s_delay_alu instid0(VALU_DEP_1) | instskip(NEXT) | instid1(VALU_DEP_1)
	v_and_b32_e32 v20, 31, v28
	v_lshlrev_b32_e32 v23, 2, v20
	ds_bpermute_b32 v20, v23, v18
	s_wait_dscnt 0x1
	ds_bpermute_b32 v21, v23, v19
	ds_bpermute_b32 v22, v23, v14
	;; [unrolled: 1-line block ×3, first 2 shown]
	v_cmpx_gt_i32_e64 s20, v28
	s_cbranch_execz .LBB3_44
; %bb.43:
	s_wait_dscnt 0x2
	v_and_b32_e32 v18, 0xff, v21
	v_and_b32_e32 v19, 0xffffff00, v21
	s_delay_alu instid0(VALU_DEP_1) | instskip(NEXT) | instid1(VALU_DEP_1)
	v_or_b32_e32 v21, v18, v19
	v_cmp_gt_f64_e32 vcc_lo, v[16:17], v[20:21]
	s_wait_dscnt 0x0
	v_and_b32_e32 v18, 0xff, v23
	s_wait_alu 0xfffd
	v_dual_cndmask_b32 v14, v14, v22 :: v_dual_and_b32 v19, 0xffffff00, v23
	s_delay_alu instid0(VALU_DEP_1) | instskip(SKIP_1) | instid1(VALU_DEP_1)
	v_or_b32_e32 v23, v18, v19
	v_dual_cndmask_b32 v19, v17, v21 :: v_dual_cndmask_b32 v18, v16, v20
	v_dual_cndmask_b32 v15, v15, v23 :: v_dual_mov_b32 v16, v18
	s_delay_alu instid0(VALU_DEP_2)
	v_mov_b32_e32 v17, v19
.LBB3_44:
	s_wait_alu 0xfffe
	s_or_b32 exec_lo, exec_lo, s1
	v_xor_b32_e32 v28, 8, v24
	s_mov_b32 s1, exec_lo
	s_wait_dscnt 0x3
	s_delay_alu instid0(VALU_DEP_1) | instskip(SKIP_1) | instid1(VALU_DEP_1)
	v_and_b32_e32 v20, 31, v28
	s_wait_dscnt 0x0
	v_lshlrev_b32_e32 v23, 2, v20
	ds_bpermute_b32 v20, v23, v18
	ds_bpermute_b32 v21, v23, v19
	;; [unrolled: 1-line block ×4, first 2 shown]
	v_cmpx_gt_i32_e64 s20, v28
	s_cbranch_execz .LBB3_46
; %bb.45:
	s_wait_dscnt 0x2
	v_and_b32_e32 v18, 0xff, v21
	v_and_b32_e32 v19, 0xffffff00, v21
	s_delay_alu instid0(VALU_DEP_1) | instskip(NEXT) | instid1(VALU_DEP_1)
	v_or_b32_e32 v21, v18, v19
	v_cmp_gt_f64_e32 vcc_lo, v[16:17], v[20:21]
	s_wait_dscnt 0x0
	v_and_b32_e32 v18, 0xff, v23
	s_wait_alu 0xfffd
	v_dual_cndmask_b32 v14, v14, v22 :: v_dual_and_b32 v19, 0xffffff00, v23
	s_delay_alu instid0(VALU_DEP_1) | instskip(SKIP_1) | instid1(VALU_DEP_1)
	v_or_b32_e32 v23, v18, v19
	v_dual_cndmask_b32 v19, v17, v21 :: v_dual_cndmask_b32 v18, v16, v20
	v_dual_cndmask_b32 v15, v15, v23 :: v_dual_mov_b32 v16, v18
	s_delay_alu instid0(VALU_DEP_2)
	v_mov_b32_e32 v17, v19
.LBB3_46:
	s_wait_alu 0xfffe
	s_or_b32 exec_lo, exec_lo, s1
	v_xor_b32_e32 v28, 16, v24
	s_mov_b32 s1, exec_lo
	s_wait_dscnt 0x3
	s_delay_alu instid0(VALU_DEP_1) | instskip(SKIP_1) | instid1(VALU_DEP_1)
	v_and_b32_e32 v20, 31, v28
	s_wait_dscnt 0x0
	v_lshlrev_b32_e32 v23, 2, v20
	ds_bpermute_b32 v20, v23, v18
	ds_bpermute_b32 v21, v23, v19
	ds_bpermute_b32 v22, v23, v14
	ds_bpermute_b32 v23, v23, v15
	v_cmpx_gt_i32_e64 s20, v28
	s_cbranch_execz .LBB3_48
; %bb.47:
	s_wait_dscnt 0x2
	v_and_b32_e32 v18, 0xff, v21
	v_and_b32_e32 v19, 0xffffff00, v21
	s_delay_alu instid0(VALU_DEP_1) | instskip(NEXT) | instid1(VALU_DEP_1)
	v_or_b32_e32 v21, v18, v19
	v_cmp_gt_f64_e32 vcc_lo, v[16:17], v[20:21]
	s_wait_dscnt 0x0
	v_and_b32_e32 v18, 0xff, v23
	s_wait_alu 0xfffd
	v_dual_cndmask_b32 v14, v14, v22 :: v_dual_and_b32 v19, 0xffffff00, v23
	s_delay_alu instid0(VALU_DEP_1) | instskip(SKIP_1) | instid1(VALU_DEP_1)
	v_or_b32_e32 v23, v18, v19
	v_dual_cndmask_b32 v19, v17, v21 :: v_dual_cndmask_b32 v18, v16, v20
	v_dual_cndmask_b32 v15, v15, v23 :: v_dual_mov_b32 v16, v18
	s_delay_alu instid0(VALU_DEP_2)
	v_mov_b32_e32 v17, v19
.LBB3_48:
	s_wait_alu 0xfffe
	s_or_b32 exec_lo, exec_lo, s1
	s_wait_dscnt 0x3
	v_lshlrev_b32_e32 v20, 2, v24
	s_wait_dscnt 0x1
	v_xor_b32_e32 v22, 32, v24
	s_mov_b32 s1, exec_lo
	s_delay_alu instid0(VALU_DEP_2)
	v_and_b32_e32 v21, 0x7c, v20
	ds_bpermute_b32 v18, v21, v18
	ds_bpermute_b32 v19, v21, v19
	;; [unrolled: 1-line block ×4, first 2 shown]
	v_cmpx_gt_i32_e64 s20, v22
	s_cbranch_execz .LBB3_50
; %bb.49:
	s_wait_dscnt 0x2
	v_and_b32_e32 v22, 0xff, v19
	v_and_b32_e32 v19, 0xffffff00, v19
	s_delay_alu instid0(VALU_DEP_1) | instskip(NEXT) | instid1(VALU_DEP_1)
	v_or_b32_e32 v19, v22, v19
	v_cmp_gt_f64_e32 vcc_lo, v[16:17], v[18:19]
	s_wait_dscnt 0x0
	v_and_b32_e32 v22, 0xff, v21
	s_wait_alu 0xfffd
	v_dual_cndmask_b32 v14, v14, v20 :: v_dual_and_b32 v21, 0xffffff00, v21
	v_cndmask_b32_e32 v17, v17, v19, vcc_lo
	s_delay_alu instid0(VALU_DEP_2) | instskip(NEXT) | instid1(VALU_DEP_1)
	v_or_b32_e32 v21, v22, v21
	v_dual_cndmask_b32 v16, v16, v18 :: v_dual_cndmask_b32 v15, v15, v21
.LBB3_50:
	s_wait_alu 0xfffe
	s_or_b32 exec_lo, exec_lo, s1
	s_branch .LBB3_52
.LBB3_51:
	v_xor_b32_e32 v14, 1, v25
	s_delay_alu instid0(VALU_DEP_1) | instskip(SKIP_2) | instid1(VALU_DEP_1)
	v_cmp_gt_i32_e32 vcc_lo, 32, v14
	s_wait_alu 0xfffd
	v_cndmask_b32_e32 v14, v25, v14, vcc_lo
	v_lshlrev_b32_e32 v16, 2, v14
	ds_bpermute_b32 v15, v16, v3
	ds_bpermute_b32 v14, v16, v2
	s_wait_dscnt 0x1
	v_and_b32_e32 v17, 0xff, v15
	v_and_b32_e32 v15, 0xffffff00, v15
	s_delay_alu instid0(VALU_DEP_1) | instskip(SKIP_2) | instid1(VALU_DEP_2)
	v_or_b32_e32 v15, v17, v15
	v_xor_b32_e32 v17, 2, v25
	s_wait_dscnt 0x0
	v_cmp_gt_f64_e32 vcc_lo, v[2:3], v[14:15]
	s_delay_alu instid0(VALU_DEP_2) | instskip(SKIP_1) | instid1(VALU_DEP_1)
	v_cmp_gt_i32_e64 s1, 32, v17
	s_wait_alu 0xf1ff
	v_cndmask_b32_e64 v17, v25, v17, s1
	s_wait_alu 0xfffd
	v_cndmask_b32_e32 v3, v3, v15, vcc_lo
	ds_bpermute_b32 v20, v16, v1
	ds_bpermute_b32 v16, v16, v0
	v_dual_cndmask_b32 v2, v2, v14 :: v_dual_lshlrev_b32 v17, 2, v17
	ds_bpermute_b32 v15, v17, v3
	ds_bpermute_b32 v14, v17, v2
	s_wait_dscnt 0x3
	v_and_b32_e32 v21, 0xff, v20
	v_and_b32_e32 v20, 0xffffff00, v20
	s_delay_alu instid0(VALU_DEP_1) | instskip(SKIP_3) | instid1(VALU_DEP_3)
	v_or_b32_e32 v20, v21, v20
	s_wait_dscnt 0x1
	v_and_b32_e32 v18, 0xff, v15
	v_and_b32_e32 v15, 0xffffff00, v15
	v_cndmask_b32_e32 v1, v1, v20, vcc_lo
	s_delay_alu instid0(VALU_DEP_2) | instskip(SKIP_2) | instid1(VALU_DEP_2)
	v_or_b32_e32 v15, v18, v15
	v_xor_b32_e32 v18, 4, v25
	s_wait_dscnt 0x0
	v_cmp_gt_f64_e64 s1, v[2:3], v[14:15]
	s_delay_alu instid0(VALU_DEP_2) | instskip(SKIP_1) | instid1(VALU_DEP_1)
	v_cmp_gt_i32_e64 s2, 32, v18
	s_wait_alu 0xf1ff
	v_cndmask_b32_e64 v18, v25, v18, s2
	s_delay_alu instid0(VALU_DEP_1) | instskip(NEXT) | instid1(VALU_DEP_4)
	v_lshlrev_b32_e32 v18, 2, v18
	v_cndmask_b32_e64 v3, v3, v15, s1
	v_cndmask_b32_e64 v2, v2, v14, s1
	ds_bpermute_b32 v15, v18, v3
	ds_bpermute_b32 v14, v18, v2
	s_wait_dscnt 0x1
	v_and_b32_e32 v19, 0xff, v15
	v_and_b32_e32 v15, 0xffffff00, v15
	s_delay_alu instid0(VALU_DEP_1) | instskip(SKIP_2) | instid1(VALU_DEP_2)
	v_or_b32_e32 v15, v19, v15
	v_xor_b32_e32 v19, 8, v25
	s_wait_dscnt 0x0
	v_cmp_gt_f64_e64 s2, v[2:3], v[14:15]
	s_delay_alu instid0(VALU_DEP_2) | instskip(SKIP_1) | instid1(VALU_DEP_1)
	v_cmp_gt_i32_e64 s3, 32, v19
	s_wait_alu 0xf1ff
	v_cndmask_b32_e64 v19, v25, v19, s3
	s_delay_alu instid0(VALU_DEP_1) | instskip(NEXT) | instid1(VALU_DEP_4)
	v_lshlrev_b32_e32 v19, 2, v19
	v_cndmask_b32_e64 v3, v3, v15, s2
	v_cndmask_b32_e64 v2, v2, v14, s2
	ds_bpermute_b32 v15, v19, v3
	ds_bpermute_b32 v14, v19, v2
	s_wait_dscnt 0x1
	v_and_b32_e32 v21, 0xff, v15
	v_and_b32_e32 v15, 0xffffff00, v15
	s_delay_alu instid0(VALU_DEP_1) | instskip(SKIP_1) | instid1(VALU_DEP_1)
	v_or_b32_e32 v15, v21, v15
	s_wait_dscnt 0x0
	v_cmp_gt_f64_e64 s3, v[2:3], v[14:15]
	s_wait_alu 0xf1ff
	s_delay_alu instid0(VALU_DEP_1)
	v_cndmask_b32_e64 v2, v2, v14, s3
	v_cndmask_b32_e32 v14, v0, v16, vcc_lo
	ds_bpermute_b32 v20, v17, v1
	v_cndmask_b32_e64 v3, v3, v15, s3
	ds_bpermute_b32 v16, v17, v14
	s_wait_dscnt 0x1
	v_and_b32_e32 v21, 0xff, v20
	v_and_b32_e32 v20, 0xffffff00, v20
	s_wait_dscnt 0x0
	v_cndmask_b32_e64 v14, v14, v16, s1
	s_delay_alu instid0(VALU_DEP_2) | instskip(SKIP_1) | instid1(VALU_DEP_2)
	v_or_b32_e32 v20, v21, v20
	v_xor_b32_e32 v21, 16, v25
	v_cndmask_b32_e64 v1, v1, v20, s1
	s_delay_alu instid0(VALU_DEP_2) | instskip(SKIP_1) | instid1(VALU_DEP_1)
	v_cmp_gt_i32_e64 s4, 32, v21
	s_wait_alu 0xf1ff
	v_cndmask_b32_e64 v20, v25, v21, s4
	ds_bpermute_b32 v21, v18, v1
	v_lshlrev_b32_e32 v20, 2, v20
	ds_bpermute_b32 v15, v20, v3
	ds_bpermute_b32 v0, v20, v2
	s_wait_dscnt 0x2
	v_and_b32_e32 v17, 0xff, v21
	v_and_b32_e32 v21, 0xffffff00, v21
	s_delay_alu instid0(VALU_DEP_1) | instskip(SKIP_3) | instid1(VALU_DEP_3)
	v_or_b32_e32 v17, v17, v21
	s_wait_dscnt 0x1
	v_and_b32_e32 v21, 0xff, v15
	v_and_b32_e32 v15, 0xffffff00, v15
	v_cndmask_b32_e64 v17, v1, v17, s2
	s_delay_alu instid0(VALU_DEP_2)
	v_or_b32_e32 v1, v21, v15
	ds_bpermute_b32 v15, v19, v17
	s_wait_dscnt 0x1
	v_cmp_gt_f64_e32 vcc_lo, v[2:3], v[0:1]
	s_wait_dscnt 0x0
	v_and_b32_e32 v21, 0xff, v15
	v_and_b32_e32 v15, 0xffffff00, v15
	s_delay_alu instid0(VALU_DEP_1) | instskip(NEXT) | instid1(VALU_DEP_1)
	v_or_b32_e32 v15, v21, v15
	v_cndmask_b32_e64 v15, v17, v15, s3
	ds_bpermute_b32 v17, v20, v15
	s_wait_alu 0xfffd
	v_cndmask_b32_e32 v1, v3, v1, vcc_lo
	ds_bpermute_b32 v16, v18, v14
	v_or_b32_e32 v18, 32, v25
	v_cndmask_b32_e32 v0, v2, v0, vcc_lo
	s_delay_alu instid0(VALU_DEP_2) | instskip(SKIP_1) | instid1(VALU_DEP_1)
	v_cmp_gt_i32_e64 s1, 32, v18
	s_wait_alu 0xf1ff
	v_cndmask_b32_e64 v18, v25, v18, s1
	s_delay_alu instid0(VALU_DEP_1)
	v_lshlrev_b32_e32 v18, 2, v18
	s_wait_dscnt 0x0
	v_cndmask_b32_e64 v14, v14, v16, s2
	ds_bpermute_b32 v16, v18, v1
	ds_bpermute_b32 v3, v19, v14
	v_and_b32_e32 v19, 0xff, v17
	v_and_b32_e32 v17, 0xffffff00, v17
	s_wait_dscnt 0x0
	v_cndmask_b32_e64 v14, v14, v3, s3
	v_and_b32_e32 v3, 0xff, v16
	v_and_b32_e32 v16, 0xffffff00, v16
	ds_bpermute_b32 v20, v20, v14
	v_or_b32_e32 v3, v3, v16
	v_or_b32_e32 v16, v19, v17
	s_delay_alu instid0(VALU_DEP_1)
	v_cndmask_b32_e32 v15, v15, v16, vcc_lo
	ds_bpermute_b32 v2, v18, v0
	ds_bpermute_b32 v16, v18, v15
	s_wait_dscnt 0x2
	v_cndmask_b32_e32 v14, v14, v20, vcc_lo
	ds_bpermute_b32 v18, v18, v14
	s_wait_dscnt 0x2
	v_cmp_gt_f64_e64 s1, v[0:1], v[2:3]
	s_wait_dscnt 0x1
	v_and_b32_e32 v17, 0xff, v16
	v_and_b32_e32 v16, 0xffffff00, v16
	s_delay_alu instid0(VALU_DEP_1) | instskip(SKIP_1) | instid1(VALU_DEP_4)
	v_or_b32_e32 v19, v17, v16
	s_wait_alu 0xf1ff
	v_cndmask_b32_e64 v17, v1, v3, s1
	v_cndmask_b32_e64 v16, v0, v2, s1
	s_delay_alu instid0(VALU_DEP_3)
	v_cndmask_b32_e64 v15, v15, v19, s1
	s_wait_dscnt 0x0
	v_cndmask_b32_e64 v14, v14, v18, s1
.LBB3_52:
	s_and_not1_b32 vcc_lo, exec_lo, s19
	s_wait_alu 0xfffe
	s_cbranch_vccnz .LBB3_60
; %bb.53:
	s_mov_b32 s1, exec_lo
	v_cmpx_eq_u32_e32 0, v12
; %bb.54:
	v_lshlrev_b32_e32 v0, 3, v27
	ds_store_2addr_b64 v0, v[16:17], v[14:15] offset1:16
; %bb.55:
	s_wait_alu 0xfffe
	s_or_b32 exec_lo, exec_lo, s1
	v_add_co_u32 v0, vcc_lo, v24, 63
	s_wait_alu 0xfffd
	v_add_co_ci_u32_e64 v1, null, 0, v26, vcc_lo
	s_mov_b32 s4, exec_lo
	s_wait_loadcnt_dscnt 0x0
	s_barrier_signal -1
	s_barrier_wait -1
	global_inv scope:SCOPE_SE
	v_cmpx_gt_u64_e32 0x7f, v[0:1]
	s_cbranch_execz .LBB3_59
; %bb.56:
	v_lshlrev_b64_e32 v[0:1], 6, v[12:13]
	v_dual_mov_b32 v2, s10 :: v_dual_mov_b32 v3, s11
	s_delay_alu instid0(VALU_DEP_2)
	v_cmp_gt_i64_e32 vcc_lo, s[20:21], v[0:1]
	v_dual_mov_b32 v0, s8 :: v_dual_mov_b32 v1, s9
	s_and_saveexec_b32 s1, vcc_lo
; %bb.57:
	v_lshlrev_b32_e32 v0, 3, v12
	ds_load_2addr_b64 v[0:3], v0 offset1:16
; %bb.58:
	s_wait_alu 0xfffe
	s_or_b32 exec_lo, exec_lo, s1
	v_xor_b32_e32 v12, 1, v25
	s_delay_alu instid0(VALU_DEP_1) | instskip(SKIP_2) | instid1(VALU_DEP_1)
	v_cmp_gt_i32_e32 vcc_lo, 32, v12
	s_wait_alu 0xfffd
	v_cndmask_b32_e32 v12, v25, v12, vcc_lo
	v_lshlrev_b32_e32 v14, 2, v12
	s_wait_dscnt 0x0
	ds_bpermute_b32 v13, v14, v1
	ds_bpermute_b32 v12, v14, v0
	s_wait_dscnt 0x1
	v_and_b32_e32 v15, 0xff, v13
	v_and_b32_e32 v13, 0xffffff00, v13
	s_delay_alu instid0(VALU_DEP_1) | instskip(SKIP_2) | instid1(VALU_DEP_2)
	v_or_b32_e32 v13, v15, v13
	v_xor_b32_e32 v15, 2, v25
	s_wait_dscnt 0x0
	v_cmp_gt_f64_e32 vcc_lo, v[0:1], v[12:13]
	s_delay_alu instid0(VALU_DEP_2) | instskip(SKIP_1) | instid1(VALU_DEP_1)
	v_cmp_gt_i32_e64 s1, 32, v15
	s_wait_alu 0xf1ff
	v_cndmask_b32_e64 v15, v25, v15, s1
	s_wait_alu 0xfffd
	v_cndmask_b32_e32 v1, v1, v13, vcc_lo
	ds_bpermute_b32 v17, v14, v3
	ds_bpermute_b32 v14, v14, v2
	v_dual_cndmask_b32 v0, v0, v12 :: v_dual_lshlrev_b32 v15, 2, v15
	s_wait_dscnt 0x1
	v_and_b32_e32 v18, 0xff, v17
	s_wait_dscnt 0x0
	v_cndmask_b32_e32 v14, v2, v14, vcc_lo
	ds_bpermute_b32 v13, v15, v1
	ds_bpermute_b32 v12, v15, v0
	v_and_b32_e32 v17, 0xffffff00, v17
	s_delay_alu instid0(VALU_DEP_1) | instskip(NEXT) | instid1(VALU_DEP_1)
	v_or_b32_e32 v17, v18, v17
	v_cndmask_b32_e32 v3, v3, v17, vcc_lo
	ds_bpermute_b32 v17, v15, v3
	s_wait_dscnt 0x2
	v_and_b32_e32 v16, 0xff, v13
	v_and_b32_e32 v13, 0xffffff00, v13
	s_delay_alu instid0(VALU_DEP_1) | instskip(SKIP_2) | instid1(VALU_DEP_2)
	v_or_b32_e32 v13, v16, v13
	v_xor_b32_e32 v16, 4, v25
	s_wait_dscnt 0x1
	v_cmp_gt_f64_e64 s1, v[0:1], v[12:13]
	s_delay_alu instid0(VALU_DEP_2) | instskip(SKIP_1) | instid1(VALU_DEP_1)
	v_cmp_gt_i32_e64 s2, 32, v16
	s_wait_alu 0xf1ff
	v_cndmask_b32_e64 v16, v25, v16, s2
	s_wait_dscnt 0x0
	v_and_b32_e32 v19, 0xff, v17
	v_and_b32_e32 v17, 0xffffff00, v17
	s_delay_alu instid0(VALU_DEP_3) | instskip(NEXT) | instid1(VALU_DEP_2)
	v_lshlrev_b32_e32 v16, 2, v16
	v_or_b32_e32 v17, v19, v17
	v_cndmask_b32_e64 v1, v1, v13, s1
	v_cndmask_b32_e64 v0, v0, v12, s1
	ds_bpermute_b32 v13, v16, v1
	ds_bpermute_b32 v12, v16, v0
	s_wait_dscnt 0x1
	v_and_b32_e32 v18, 0xff, v13
	v_and_b32_e32 v13, 0xffffff00, v13
	s_delay_alu instid0(VALU_DEP_1) | instskip(SKIP_2) | instid1(VALU_DEP_2)
	v_or_b32_e32 v13, v18, v13
	v_xor_b32_e32 v18, 8, v25
	s_wait_dscnt 0x0
	v_cmp_gt_f64_e64 s2, v[0:1], v[12:13]
	s_delay_alu instid0(VALU_DEP_2) | instskip(SKIP_1) | instid1(VALU_DEP_1)
	v_cmp_gt_i32_e64 s3, 32, v18
	s_wait_alu 0xf1ff
	v_cndmask_b32_e64 v18, v25, v18, s3
	s_delay_alu instid0(VALU_DEP_1) | instskip(NEXT) | instid1(VALU_DEP_4)
	v_lshlrev_b32_e32 v18, 2, v18
	v_cndmask_b32_e64 v1, v1, v13, s2
	v_cndmask_b32_e64 v13, v3, v17, s1
	ds_bpermute_b32 v3, v15, v14
	v_cndmask_b32_e64 v0, v0, v12, s2
	ds_bpermute_b32 v15, v18, v1
	ds_bpermute_b32 v17, v16, v13
	;; [unrolled: 1-line block ×3, first 2 shown]
	s_wait_dscnt 0x3
	v_cndmask_b32_e64 v12, v14, v3, s1
	s_wait_dscnt 0x2
	v_and_b32_e32 v3, 0xff, v15
	v_and_b32_e32 v14, 0xffffff00, v15
	s_wait_dscnt 0x1
	v_and_b32_e32 v15, 0xff, v17
	v_and_b32_e32 v17, 0xffffff00, v17
	ds_bpermute_b32 v16, v16, v12
	v_or_b32_e32 v3, v3, v14
	v_or_b32_e32 v14, v15, v17
	s_wait_dscnt 0x1
	s_delay_alu instid0(VALU_DEP_2) | instskip(NEXT) | instid1(VALU_DEP_2)
	v_cmp_gt_f64_e32 vcc_lo, v[0:1], v[2:3]
	v_cndmask_b32_e64 v13, v13, v14, s2
	ds_bpermute_b32 v14, v18, v13
	s_wait_dscnt 0x1
	v_cndmask_b32_e64 v12, v12, v16, s2
	ds_bpermute_b32 v18, v18, v12
	s_wait_dscnt 0x1
	v_and_b32_e32 v15, 0xff, v14
	v_and_b32_e32 v14, 0xffffff00, v14
	s_delay_alu instid0(VALU_DEP_1) | instskip(SKIP_2) | instid1(VALU_DEP_2)
	v_or_b32_e32 v14, v15, v14
	s_wait_alu 0xfffd
	v_dual_cndmask_b32 v17, v1, v3 :: v_dual_cndmask_b32 v16, v0, v2
	v_cndmask_b32_e32 v15, v13, v14, vcc_lo
	s_wait_dscnt 0x0
	v_cndmask_b32_e32 v14, v12, v18, vcc_lo
.LBB3_59:
	s_wait_alu 0xfffe
	s_or_b32 exec_lo, exec_lo, s4
	s_wait_loadcnt 0x0
	s_barrier_signal -1
	s_barrier_wait -1
	global_inv scope:SCOPE_SE
.LBB3_60:
	v_mov_b32_e32 v0, 0
	v_cndmask_b32_e64 v1, v7, v17, s0
	v_cndmask_b32_e64 v3, v5, v15, s0
	;; [unrolled: 1-line block ×3, first 2 shown]
	ds_load_u8 v0, v0 offset:256
	s_wait_dscnt 0x0
	v_and_b32_e32 v12, 1, v0
	v_cndmask_b32_e64 v0, v6, v16, s0
	s_delay_alu instid0(VALU_DEP_2)
	v_cmp_eq_u32_e64 s1, 1, v12
.LBB3_61:
	s_wait_alu 0xfffe
	s_delay_alu instid0(VALU_DEP_1)
	s_and_b32 s1, s0, s1
	s_wait_alu 0xfffe
	v_cndmask_b32_e64 v12, 32, s5, s1
	s_branch .LBB3_66
.LBB3_62:
                                        ; implicit-def: $vgpr12
                                        ; implicit-def: $vgpr2_vgpr3
	s_cbranch_execz .LBB3_66
; %bb.63:
	v_mov_b32_e32 v12, 32
	s_and_saveexec_b32 s1, s0
; %bb.64:
	v_mov_b32_e32 v4, v8
	v_mov_b32_e32 v6, v10
	v_dual_mov_b32 v12, s5 :: v_dual_mov_b32 v5, v9
	v_mov_b32_e32 v7, v11
; %bb.65:
	s_wait_alu 0xfffe
	s_or_b32 exec_lo, exec_lo, s1
	s_delay_alu instid0(VALU_DEP_1)
	v_dual_mov_b32 v0, v6 :: v_dual_mov_b32 v1, v7
	s_wait_dscnt 0x0
	v_dual_mov_b32 v2, v4 :: v_dual_mov_b32 v3, v5
.LBB3_66:
	s_mov_b32 s0, exec_lo
	s_delay_alu instid0(VALU_DEP_1)
	v_cmpx_ne_u32_e32 32, v12
	s_cbranch_execz .LBB3_5
; %bb.67:
	v_ashrrev_i32_e32 v13, 31, v12
	s_delay_alu instid0(VALU_DEP_1) | instskip(NEXT) | instid1(VALU_DEP_1)
	v_lshlrev_b64_e32 v[4:5], 4, v[12:13]
	v_add_co_u32 v4, vcc_lo, s6, v4
	s_wait_alu 0xfffd
	s_delay_alu instid0(VALU_DEP_2)
	v_add_co_ci_u32_e64 v5, null, s7, v5, vcc_lo
	s_wait_dscnt 0x0
	flat_store_b128 v[4:5], v[0:3]
	s_endpgm
.LBB3_68:
                                        ; implicit-def: $vgpr10_vgpr11
                                        ; implicit-def: $vgpr8_vgpr9
	v_mbcnt_lo_u32_b32 v25, -1, 0
	s_wait_alu 0xfffe
	s_and_b32 vcc_lo, exec_lo, s0
	s_wait_alu 0xfffe
	s_cbranch_vccnz .LBB3_20
	s_branch .LBB3_21
.LBB3_69:
                                        ; implicit-def: $vgpr16_vgpr17
                                        ; implicit-def: $vgpr14_vgpr15
	s_cbranch_execnz .LBB3_51
	s_branch .LBB3_52
	.section	.rodata,"a",@progbits
	.p2align	6, 0x0
	.amdhsa_kernel _ZN4RAJA6policy3hip4impl18forallp_hip_kernelINS1_8hip_execINS_17iteration_mapping11StridedLoopILm0EEENS_3hip11IndexGlobalILNS_9named_dimE0ELi256ELi0EEENS8_40AvoidDeviceMaxThreadOccupancyConcretizerINS8_34FractionOffsetOccupancyConcretizerINS_8FractionImLm1ELm1EEELln1EEEEELb1EEENS_9Iterators16numeric_iteratorIllPlEEZN8rajaperf5lcals9FIRST_MIN17runHipVariantRAJAILm256ENSN_11gpu_mapping40global_loop_occupancy_grid_stride_helperEEEvNSN_9VariantIDEEUllE_lNS_4expt15ForallParamPackIJEEES7_SB_TnNSt9enable_ifIXaaaasr3std10is_base_ofINS5_15StridedLoopBaseET4_EE5valuesr3std10is_base_ofINS5_15UnsizedLoopBaseES10_EE5valuegtsrT5_10block_sizeLi0EEmE4typeELm256EEEvT1_T0_T2_T3_
		.amdhsa_group_segment_fixed_size 257
		.amdhsa_private_segment_fixed_size 0
		.amdhsa_kernarg_size 368
		.amdhsa_user_sgpr_count 2
		.amdhsa_user_sgpr_dispatch_ptr 0
		.amdhsa_user_sgpr_queue_ptr 0
		.amdhsa_user_sgpr_kernarg_segment_ptr 1
		.amdhsa_user_sgpr_dispatch_id 0
		.amdhsa_user_sgpr_private_segment_size 0
		.amdhsa_wavefront_size32 1
		.amdhsa_uses_dynamic_stack 0
		.amdhsa_enable_private_segment 0
		.amdhsa_system_sgpr_workgroup_id_x 1
		.amdhsa_system_sgpr_workgroup_id_y 1
		.amdhsa_system_sgpr_workgroup_id_z 1
		.amdhsa_system_sgpr_workgroup_info 0
		.amdhsa_system_vgpr_workitem_id 2
		.amdhsa_next_free_vgpr 30
		.amdhsa_next_free_sgpr 28
		.amdhsa_reserve_vcc 1
		.amdhsa_float_round_mode_32 0
		.amdhsa_float_round_mode_16_64 0
		.amdhsa_float_denorm_mode_32 3
		.amdhsa_float_denorm_mode_16_64 3
		.amdhsa_fp16_overflow 0
		.amdhsa_workgroup_processor_mode 1
		.amdhsa_memory_ordered 1
		.amdhsa_forward_progress 1
		.amdhsa_inst_pref_size 57
		.amdhsa_round_robin_scheduling 0
		.amdhsa_exception_fp_ieee_invalid_op 0
		.amdhsa_exception_fp_denorm_src 0
		.amdhsa_exception_fp_ieee_div_zero 0
		.amdhsa_exception_fp_ieee_overflow 0
		.amdhsa_exception_fp_ieee_underflow 0
		.amdhsa_exception_fp_ieee_inexact 0
		.amdhsa_exception_int_div_zero 0
	.end_amdhsa_kernel
	.section	.text._ZN4RAJA6policy3hip4impl18forallp_hip_kernelINS1_8hip_execINS_17iteration_mapping11StridedLoopILm0EEENS_3hip11IndexGlobalILNS_9named_dimE0ELi256ELi0EEENS8_40AvoidDeviceMaxThreadOccupancyConcretizerINS8_34FractionOffsetOccupancyConcretizerINS_8FractionImLm1ELm1EEELln1EEEEELb1EEENS_9Iterators16numeric_iteratorIllPlEEZN8rajaperf5lcals9FIRST_MIN17runHipVariantRAJAILm256ENSN_11gpu_mapping40global_loop_occupancy_grid_stride_helperEEEvNSN_9VariantIDEEUllE_lNS_4expt15ForallParamPackIJEEES7_SB_TnNSt9enable_ifIXaaaasr3std10is_base_ofINS5_15StridedLoopBaseET4_EE5valuesr3std10is_base_ofINS5_15UnsizedLoopBaseES10_EE5valuegtsrT5_10block_sizeLi0EEmE4typeELm256EEEvT1_T0_T2_T3_,"axG",@progbits,_ZN4RAJA6policy3hip4impl18forallp_hip_kernelINS1_8hip_execINS_17iteration_mapping11StridedLoopILm0EEENS_3hip11IndexGlobalILNS_9named_dimE0ELi256ELi0EEENS8_40AvoidDeviceMaxThreadOccupancyConcretizerINS8_34FractionOffsetOccupancyConcretizerINS_8FractionImLm1ELm1EEELln1EEEEELb1EEENS_9Iterators16numeric_iteratorIllPlEEZN8rajaperf5lcals9FIRST_MIN17runHipVariantRAJAILm256ENSN_11gpu_mapping40global_loop_occupancy_grid_stride_helperEEEvNSN_9VariantIDEEUllE_lNS_4expt15ForallParamPackIJEEES7_SB_TnNSt9enable_ifIXaaaasr3std10is_base_ofINS5_15StridedLoopBaseET4_EE5valuesr3std10is_base_ofINS5_15UnsizedLoopBaseES10_EE5valuegtsrT5_10block_sizeLi0EEmE4typeELm256EEEvT1_T0_T2_T3_,comdat
.Lfunc_end3:
	.size	_ZN4RAJA6policy3hip4impl18forallp_hip_kernelINS1_8hip_execINS_17iteration_mapping11StridedLoopILm0EEENS_3hip11IndexGlobalILNS_9named_dimE0ELi256ELi0EEENS8_40AvoidDeviceMaxThreadOccupancyConcretizerINS8_34FractionOffsetOccupancyConcretizerINS_8FractionImLm1ELm1EEELln1EEEEELb1EEENS_9Iterators16numeric_iteratorIllPlEEZN8rajaperf5lcals9FIRST_MIN17runHipVariantRAJAILm256ENSN_11gpu_mapping40global_loop_occupancy_grid_stride_helperEEEvNSN_9VariantIDEEUllE_lNS_4expt15ForallParamPackIJEEES7_SB_TnNSt9enable_ifIXaaaasr3std10is_base_ofINS5_15StridedLoopBaseET4_EE5valuesr3std10is_base_ofINS5_15UnsizedLoopBaseES10_EE5valuegtsrT5_10block_sizeLi0EEmE4typeELm256EEEvT1_T0_T2_T3_, .Lfunc_end3-_ZN4RAJA6policy3hip4impl18forallp_hip_kernelINS1_8hip_execINS_17iteration_mapping11StridedLoopILm0EEENS_3hip11IndexGlobalILNS_9named_dimE0ELi256ELi0EEENS8_40AvoidDeviceMaxThreadOccupancyConcretizerINS8_34FractionOffsetOccupancyConcretizerINS_8FractionImLm1ELm1EEELln1EEEEELb1EEENS_9Iterators16numeric_iteratorIllPlEEZN8rajaperf5lcals9FIRST_MIN17runHipVariantRAJAILm256ENSN_11gpu_mapping40global_loop_occupancy_grid_stride_helperEEEvNSN_9VariantIDEEUllE_lNS_4expt15ForallParamPackIJEEES7_SB_TnNSt9enable_ifIXaaaasr3std10is_base_ofINS5_15StridedLoopBaseET4_EE5valuesr3std10is_base_ofINS5_15UnsizedLoopBaseES10_EE5valuegtsrT5_10block_sizeLi0EEmE4typeELm256EEEvT1_T0_T2_T3_
                                        ; -- End function
	.set _ZN4RAJA6policy3hip4impl18forallp_hip_kernelINS1_8hip_execINS_17iteration_mapping11StridedLoopILm0EEENS_3hip11IndexGlobalILNS_9named_dimE0ELi256ELi0EEENS8_40AvoidDeviceMaxThreadOccupancyConcretizerINS8_34FractionOffsetOccupancyConcretizerINS_8FractionImLm1ELm1EEELln1EEEEELb1EEENS_9Iterators16numeric_iteratorIllPlEEZN8rajaperf5lcals9FIRST_MIN17runHipVariantRAJAILm256ENSN_11gpu_mapping40global_loop_occupancy_grid_stride_helperEEEvNSN_9VariantIDEEUllE_lNS_4expt15ForallParamPackIJEEES7_SB_TnNSt9enable_ifIXaaaasr3std10is_base_ofINS5_15StridedLoopBaseET4_EE5valuesr3std10is_base_ofINS5_15UnsizedLoopBaseES10_EE5valuegtsrT5_10block_sizeLi0EEmE4typeELm256EEEvT1_T0_T2_T3_.num_vgpr, 30
	.set _ZN4RAJA6policy3hip4impl18forallp_hip_kernelINS1_8hip_execINS_17iteration_mapping11StridedLoopILm0EEENS_3hip11IndexGlobalILNS_9named_dimE0ELi256ELi0EEENS8_40AvoidDeviceMaxThreadOccupancyConcretizerINS8_34FractionOffsetOccupancyConcretizerINS_8FractionImLm1ELm1EEELln1EEEEELb1EEENS_9Iterators16numeric_iteratorIllPlEEZN8rajaperf5lcals9FIRST_MIN17runHipVariantRAJAILm256ENSN_11gpu_mapping40global_loop_occupancy_grid_stride_helperEEEvNSN_9VariantIDEEUllE_lNS_4expt15ForallParamPackIJEEES7_SB_TnNSt9enable_ifIXaaaasr3std10is_base_ofINS5_15StridedLoopBaseET4_EE5valuesr3std10is_base_ofINS5_15UnsizedLoopBaseES10_EE5valuegtsrT5_10block_sizeLi0EEmE4typeELm256EEEvT1_T0_T2_T3_.num_agpr, 0
	.set _ZN4RAJA6policy3hip4impl18forallp_hip_kernelINS1_8hip_execINS_17iteration_mapping11StridedLoopILm0EEENS_3hip11IndexGlobalILNS_9named_dimE0ELi256ELi0EEENS8_40AvoidDeviceMaxThreadOccupancyConcretizerINS8_34FractionOffsetOccupancyConcretizerINS_8FractionImLm1ELm1EEELln1EEEEELb1EEENS_9Iterators16numeric_iteratorIllPlEEZN8rajaperf5lcals9FIRST_MIN17runHipVariantRAJAILm256ENSN_11gpu_mapping40global_loop_occupancy_grid_stride_helperEEEvNSN_9VariantIDEEUllE_lNS_4expt15ForallParamPackIJEEES7_SB_TnNSt9enable_ifIXaaaasr3std10is_base_ofINS5_15StridedLoopBaseET4_EE5valuesr3std10is_base_ofINS5_15UnsizedLoopBaseES10_EE5valuegtsrT5_10block_sizeLi0EEmE4typeELm256EEEvT1_T0_T2_T3_.numbered_sgpr, 28
	.set _ZN4RAJA6policy3hip4impl18forallp_hip_kernelINS1_8hip_execINS_17iteration_mapping11StridedLoopILm0EEENS_3hip11IndexGlobalILNS_9named_dimE0ELi256ELi0EEENS8_40AvoidDeviceMaxThreadOccupancyConcretizerINS8_34FractionOffsetOccupancyConcretizerINS_8FractionImLm1ELm1EEELln1EEEEELb1EEENS_9Iterators16numeric_iteratorIllPlEEZN8rajaperf5lcals9FIRST_MIN17runHipVariantRAJAILm256ENSN_11gpu_mapping40global_loop_occupancy_grid_stride_helperEEEvNSN_9VariantIDEEUllE_lNS_4expt15ForallParamPackIJEEES7_SB_TnNSt9enable_ifIXaaaasr3std10is_base_ofINS5_15StridedLoopBaseET4_EE5valuesr3std10is_base_ofINS5_15UnsizedLoopBaseES10_EE5valuegtsrT5_10block_sizeLi0EEmE4typeELm256EEEvT1_T0_T2_T3_.num_named_barrier, 0
	.set _ZN4RAJA6policy3hip4impl18forallp_hip_kernelINS1_8hip_execINS_17iteration_mapping11StridedLoopILm0EEENS_3hip11IndexGlobalILNS_9named_dimE0ELi256ELi0EEENS8_40AvoidDeviceMaxThreadOccupancyConcretizerINS8_34FractionOffsetOccupancyConcretizerINS_8FractionImLm1ELm1EEELln1EEEEELb1EEENS_9Iterators16numeric_iteratorIllPlEEZN8rajaperf5lcals9FIRST_MIN17runHipVariantRAJAILm256ENSN_11gpu_mapping40global_loop_occupancy_grid_stride_helperEEEvNSN_9VariantIDEEUllE_lNS_4expt15ForallParamPackIJEEES7_SB_TnNSt9enable_ifIXaaaasr3std10is_base_ofINS5_15StridedLoopBaseET4_EE5valuesr3std10is_base_ofINS5_15UnsizedLoopBaseES10_EE5valuegtsrT5_10block_sizeLi0EEmE4typeELm256EEEvT1_T0_T2_T3_.private_seg_size, 0
	.set _ZN4RAJA6policy3hip4impl18forallp_hip_kernelINS1_8hip_execINS_17iteration_mapping11StridedLoopILm0EEENS_3hip11IndexGlobalILNS_9named_dimE0ELi256ELi0EEENS8_40AvoidDeviceMaxThreadOccupancyConcretizerINS8_34FractionOffsetOccupancyConcretizerINS_8FractionImLm1ELm1EEELln1EEEEELb1EEENS_9Iterators16numeric_iteratorIllPlEEZN8rajaperf5lcals9FIRST_MIN17runHipVariantRAJAILm256ENSN_11gpu_mapping40global_loop_occupancy_grid_stride_helperEEEvNSN_9VariantIDEEUllE_lNS_4expt15ForallParamPackIJEEES7_SB_TnNSt9enable_ifIXaaaasr3std10is_base_ofINS5_15StridedLoopBaseET4_EE5valuesr3std10is_base_ofINS5_15UnsizedLoopBaseES10_EE5valuegtsrT5_10block_sizeLi0EEmE4typeELm256EEEvT1_T0_T2_T3_.uses_vcc, 1
	.set _ZN4RAJA6policy3hip4impl18forallp_hip_kernelINS1_8hip_execINS_17iteration_mapping11StridedLoopILm0EEENS_3hip11IndexGlobalILNS_9named_dimE0ELi256ELi0EEENS8_40AvoidDeviceMaxThreadOccupancyConcretizerINS8_34FractionOffsetOccupancyConcretizerINS_8FractionImLm1ELm1EEELln1EEEEELb1EEENS_9Iterators16numeric_iteratorIllPlEEZN8rajaperf5lcals9FIRST_MIN17runHipVariantRAJAILm256ENSN_11gpu_mapping40global_loop_occupancy_grid_stride_helperEEEvNSN_9VariantIDEEUllE_lNS_4expt15ForallParamPackIJEEES7_SB_TnNSt9enable_ifIXaaaasr3std10is_base_ofINS5_15StridedLoopBaseET4_EE5valuesr3std10is_base_ofINS5_15UnsizedLoopBaseES10_EE5valuegtsrT5_10block_sizeLi0EEmE4typeELm256EEEvT1_T0_T2_T3_.uses_flat_scratch, 0
	.set _ZN4RAJA6policy3hip4impl18forallp_hip_kernelINS1_8hip_execINS_17iteration_mapping11StridedLoopILm0EEENS_3hip11IndexGlobalILNS_9named_dimE0ELi256ELi0EEENS8_40AvoidDeviceMaxThreadOccupancyConcretizerINS8_34FractionOffsetOccupancyConcretizerINS_8FractionImLm1ELm1EEELln1EEEEELb1EEENS_9Iterators16numeric_iteratorIllPlEEZN8rajaperf5lcals9FIRST_MIN17runHipVariantRAJAILm256ENSN_11gpu_mapping40global_loop_occupancy_grid_stride_helperEEEvNSN_9VariantIDEEUllE_lNS_4expt15ForallParamPackIJEEES7_SB_TnNSt9enable_ifIXaaaasr3std10is_base_ofINS5_15StridedLoopBaseET4_EE5valuesr3std10is_base_ofINS5_15UnsizedLoopBaseES10_EE5valuegtsrT5_10block_sizeLi0EEmE4typeELm256EEEvT1_T0_T2_T3_.has_dyn_sized_stack, 0
	.set _ZN4RAJA6policy3hip4impl18forallp_hip_kernelINS1_8hip_execINS_17iteration_mapping11StridedLoopILm0EEENS_3hip11IndexGlobalILNS_9named_dimE0ELi256ELi0EEENS8_40AvoidDeviceMaxThreadOccupancyConcretizerINS8_34FractionOffsetOccupancyConcretizerINS_8FractionImLm1ELm1EEELln1EEEEELb1EEENS_9Iterators16numeric_iteratorIllPlEEZN8rajaperf5lcals9FIRST_MIN17runHipVariantRAJAILm256ENSN_11gpu_mapping40global_loop_occupancy_grid_stride_helperEEEvNSN_9VariantIDEEUllE_lNS_4expt15ForallParamPackIJEEES7_SB_TnNSt9enable_ifIXaaaasr3std10is_base_ofINS5_15StridedLoopBaseET4_EE5valuesr3std10is_base_ofINS5_15UnsizedLoopBaseES10_EE5valuegtsrT5_10block_sizeLi0EEmE4typeELm256EEEvT1_T0_T2_T3_.has_recursion, 0
	.set _ZN4RAJA6policy3hip4impl18forallp_hip_kernelINS1_8hip_execINS_17iteration_mapping11StridedLoopILm0EEENS_3hip11IndexGlobalILNS_9named_dimE0ELi256ELi0EEENS8_40AvoidDeviceMaxThreadOccupancyConcretizerINS8_34FractionOffsetOccupancyConcretizerINS_8FractionImLm1ELm1EEELln1EEEEELb1EEENS_9Iterators16numeric_iteratorIllPlEEZN8rajaperf5lcals9FIRST_MIN17runHipVariantRAJAILm256ENSN_11gpu_mapping40global_loop_occupancy_grid_stride_helperEEEvNSN_9VariantIDEEUllE_lNS_4expt15ForallParamPackIJEEES7_SB_TnNSt9enable_ifIXaaaasr3std10is_base_ofINS5_15StridedLoopBaseET4_EE5valuesr3std10is_base_ofINS5_15UnsizedLoopBaseES10_EE5valuegtsrT5_10block_sizeLi0EEmE4typeELm256EEEvT1_T0_T2_T3_.has_indirect_call, 0
	.section	.AMDGPU.csdata,"",@progbits
; Kernel info:
; codeLenInByte = 7228
; TotalNumSgprs: 30
; NumVgprs: 30
; ScratchSize: 0
; MemoryBound: 0
; FloatMode: 240
; IeeeMode: 1
; LDSByteSize: 257 bytes/workgroup (compile time only)
; SGPRBlocks: 0
; VGPRBlocks: 3
; NumSGPRsForWavesPerEU: 30
; NumVGPRsForWavesPerEU: 30
; Occupancy: 16
; WaveLimiterHint : 1
; COMPUTE_PGM_RSRC2:SCRATCH_EN: 0
; COMPUTE_PGM_RSRC2:USER_SGPR: 2
; COMPUTE_PGM_RSRC2:TRAP_HANDLER: 0
; COMPUTE_PGM_RSRC2:TGID_X_EN: 1
; COMPUTE_PGM_RSRC2:TGID_Y_EN: 1
; COMPUTE_PGM_RSRC2:TGID_Z_EN: 1
; COMPUTE_PGM_RSRC2:TIDIG_COMP_CNT: 2
	.section	.text._ZN4RAJA6policy3hip4impl18forallp_hip_kernelINS1_8hip_execINS_17iteration_mapping11StridedLoopILm0EEENS_3hip11IndexGlobalILNS_9named_dimE0ELi256ELi0EEENS8_40AvoidDeviceMaxThreadOccupancyConcretizerINS8_34FractionOffsetOccupancyConcretizerINS_8FractionImLm1ELm1EEELln1EEEEELb1EEENS_9Iterators16numeric_iteratorIllPlEEZN8rajaperf5lcals9FIRST_MIN26runHipVariantRAJANewReduceILm256ENSN_11gpu_mapping40global_loop_occupancy_grid_stride_helperEEEvNSN_9VariantIDEEUllRNS_4expt5ValOpINSU_6ValLocIdlEENS_9operators7minimumEEEE_lNSU_15ForallParamPackIJNSU_6detail7ReducerINSZ_ISX_SX_SX_EESX_S10_EEEEES7_SB_TnNSt9enable_ifIXaaaasr3std10is_base_ofINS5_15StridedLoopBaseET4_EE5valuesr3std10is_base_ofINS5_15UnsizedLoopBaseES1B_EE5valuegtsrT5_10block_sizeLi0EEmE4typeELm256EEEvT1_T0_T2_T3_,"axG",@progbits,_ZN4RAJA6policy3hip4impl18forallp_hip_kernelINS1_8hip_execINS_17iteration_mapping11StridedLoopILm0EEENS_3hip11IndexGlobalILNS_9named_dimE0ELi256ELi0EEENS8_40AvoidDeviceMaxThreadOccupancyConcretizerINS8_34FractionOffsetOccupancyConcretizerINS_8FractionImLm1ELm1EEELln1EEEEELb1EEENS_9Iterators16numeric_iteratorIllPlEEZN8rajaperf5lcals9FIRST_MIN26runHipVariantRAJANewReduceILm256ENSN_11gpu_mapping40global_loop_occupancy_grid_stride_helperEEEvNSN_9VariantIDEEUllRNS_4expt5ValOpINSU_6ValLocIdlEENS_9operators7minimumEEEE_lNSU_15ForallParamPackIJNSU_6detail7ReducerINSZ_ISX_SX_SX_EESX_S10_EEEEES7_SB_TnNSt9enable_ifIXaaaasr3std10is_base_ofINS5_15StridedLoopBaseET4_EE5valuesr3std10is_base_ofINS5_15UnsizedLoopBaseES1B_EE5valuegtsrT5_10block_sizeLi0EEmE4typeELm256EEEvT1_T0_T2_T3_,comdat
	.protected	_ZN4RAJA6policy3hip4impl18forallp_hip_kernelINS1_8hip_execINS_17iteration_mapping11StridedLoopILm0EEENS_3hip11IndexGlobalILNS_9named_dimE0ELi256ELi0EEENS8_40AvoidDeviceMaxThreadOccupancyConcretizerINS8_34FractionOffsetOccupancyConcretizerINS_8FractionImLm1ELm1EEELln1EEEEELb1EEENS_9Iterators16numeric_iteratorIllPlEEZN8rajaperf5lcals9FIRST_MIN26runHipVariantRAJANewReduceILm256ENSN_11gpu_mapping40global_loop_occupancy_grid_stride_helperEEEvNSN_9VariantIDEEUllRNS_4expt5ValOpINSU_6ValLocIdlEENS_9operators7minimumEEEE_lNSU_15ForallParamPackIJNSU_6detail7ReducerINSZ_ISX_SX_SX_EESX_S10_EEEEES7_SB_TnNSt9enable_ifIXaaaasr3std10is_base_ofINS5_15StridedLoopBaseET4_EE5valuesr3std10is_base_ofINS5_15UnsizedLoopBaseES1B_EE5valuegtsrT5_10block_sizeLi0EEmE4typeELm256EEEvT1_T0_T2_T3_ ; -- Begin function _ZN4RAJA6policy3hip4impl18forallp_hip_kernelINS1_8hip_execINS_17iteration_mapping11StridedLoopILm0EEENS_3hip11IndexGlobalILNS_9named_dimE0ELi256ELi0EEENS8_40AvoidDeviceMaxThreadOccupancyConcretizerINS8_34FractionOffsetOccupancyConcretizerINS_8FractionImLm1ELm1EEELln1EEEEELb1EEENS_9Iterators16numeric_iteratorIllPlEEZN8rajaperf5lcals9FIRST_MIN26runHipVariantRAJANewReduceILm256ENSN_11gpu_mapping40global_loop_occupancy_grid_stride_helperEEEvNSN_9VariantIDEEUllRNS_4expt5ValOpINSU_6ValLocIdlEENS_9operators7minimumEEEE_lNSU_15ForallParamPackIJNSU_6detail7ReducerINSZ_ISX_SX_SX_EESX_S10_EEEEES7_SB_TnNSt9enable_ifIXaaaasr3std10is_base_ofINS5_15StridedLoopBaseET4_EE5valuesr3std10is_base_ofINS5_15UnsizedLoopBaseES1B_EE5valuegtsrT5_10block_sizeLi0EEmE4typeELm256EEEvT1_T0_T2_T3_
	.globl	_ZN4RAJA6policy3hip4impl18forallp_hip_kernelINS1_8hip_execINS_17iteration_mapping11StridedLoopILm0EEENS_3hip11IndexGlobalILNS_9named_dimE0ELi256ELi0EEENS8_40AvoidDeviceMaxThreadOccupancyConcretizerINS8_34FractionOffsetOccupancyConcretizerINS_8FractionImLm1ELm1EEELln1EEEEELb1EEENS_9Iterators16numeric_iteratorIllPlEEZN8rajaperf5lcals9FIRST_MIN26runHipVariantRAJANewReduceILm256ENSN_11gpu_mapping40global_loop_occupancy_grid_stride_helperEEEvNSN_9VariantIDEEUllRNS_4expt5ValOpINSU_6ValLocIdlEENS_9operators7minimumEEEE_lNSU_15ForallParamPackIJNSU_6detail7ReducerINSZ_ISX_SX_SX_EESX_S10_EEEEES7_SB_TnNSt9enable_ifIXaaaasr3std10is_base_ofINS5_15StridedLoopBaseET4_EE5valuesr3std10is_base_ofINS5_15UnsizedLoopBaseES1B_EE5valuegtsrT5_10block_sizeLi0EEmE4typeELm256EEEvT1_T0_T2_T3_
	.p2align	8
	.type	_ZN4RAJA6policy3hip4impl18forallp_hip_kernelINS1_8hip_execINS_17iteration_mapping11StridedLoopILm0EEENS_3hip11IndexGlobalILNS_9named_dimE0ELi256ELi0EEENS8_40AvoidDeviceMaxThreadOccupancyConcretizerINS8_34FractionOffsetOccupancyConcretizerINS_8FractionImLm1ELm1EEELln1EEEEELb1EEENS_9Iterators16numeric_iteratorIllPlEEZN8rajaperf5lcals9FIRST_MIN26runHipVariantRAJANewReduceILm256ENSN_11gpu_mapping40global_loop_occupancy_grid_stride_helperEEEvNSN_9VariantIDEEUllRNS_4expt5ValOpINSU_6ValLocIdlEENS_9operators7minimumEEEE_lNSU_15ForallParamPackIJNSU_6detail7ReducerINSZ_ISX_SX_SX_EESX_S10_EEEEES7_SB_TnNSt9enable_ifIXaaaasr3std10is_base_ofINS5_15StridedLoopBaseET4_EE5valuesr3std10is_base_ofINS5_15UnsizedLoopBaseES1B_EE5valuegtsrT5_10block_sizeLi0EEmE4typeELm256EEEvT1_T0_T2_T3_,@function
_ZN4RAJA6policy3hip4impl18forallp_hip_kernelINS1_8hip_execINS_17iteration_mapping11StridedLoopILm0EEENS_3hip11IndexGlobalILNS_9named_dimE0ELi256ELi0EEENS8_40AvoidDeviceMaxThreadOccupancyConcretizerINS8_34FractionOffsetOccupancyConcretizerINS_8FractionImLm1ELm1EEELln1EEEEELb1EEENS_9Iterators16numeric_iteratorIllPlEEZN8rajaperf5lcals9FIRST_MIN26runHipVariantRAJANewReduceILm256ENSN_11gpu_mapping40global_loop_occupancy_grid_stride_helperEEEvNSN_9VariantIDEEUllRNS_4expt5ValOpINSU_6ValLocIdlEENS_9operators7minimumEEEE_lNSU_15ForallParamPackIJNSU_6detail7ReducerINSZ_ISX_SX_SX_EESX_S10_EEEEES7_SB_TnNSt9enable_ifIXaaaasr3std10is_base_ofINS5_15StridedLoopBaseET4_EE5valuesr3std10is_base_ofINS5_15UnsizedLoopBaseES1B_EE5valuegtsrT5_10block_sizeLi0EEmE4typeELm256EEEvT1_T0_T2_T3_: ; @_ZN4RAJA6policy3hip4impl18forallp_hip_kernelINS1_8hip_execINS_17iteration_mapping11StridedLoopILm0EEENS_3hip11IndexGlobalILNS_9named_dimE0ELi256ELi0EEENS8_40AvoidDeviceMaxThreadOccupancyConcretizerINS8_34FractionOffsetOccupancyConcretizerINS_8FractionImLm1ELm1EEELln1EEEEELb1EEENS_9Iterators16numeric_iteratorIllPlEEZN8rajaperf5lcals9FIRST_MIN26runHipVariantRAJANewReduceILm256ENSN_11gpu_mapping40global_loop_occupancy_grid_stride_helperEEEvNSN_9VariantIDEEUllRNS_4expt5ValOpINSU_6ValLocIdlEENS_9operators7minimumEEEE_lNSU_15ForallParamPackIJNSU_6detail7ReducerINSZ_ISX_SX_SX_EESX_S10_EEEEES7_SB_TnNSt9enable_ifIXaaaasr3std10is_base_ofINS5_15StridedLoopBaseET4_EE5valuesr3std10is_base_ofINS5_15UnsizedLoopBaseES1B_EE5valuegtsrT5_10block_sizeLi0EEmE4typeELm256EEEvT1_T0_T2_T3_
; %bb.0:
	s_clause 0x1
	s_load_b256 s[4:11], s[0:1], 0x0
	s_load_b64 s[2:3], s[0:1], 0x20
	s_mov_b32 s16, ttmp9
	s_mov_b32 s17, 0
	v_and_b32_e32 v5, 0x3ff, v0
	s_lshl_b64 s[12:13], s[16:17], 8
	s_load_b32 s16, s[0:1], 0x58
	v_mov_b32_e32 v7, s13
	s_wait_kmcnt 0x0
	v_mov_b32_e32 v3, s10
	v_dual_mov_b32 v1, s2 :: v_dual_mov_b32 v4, s11
	v_or_b32_e32 v6, s12, v5
	v_mov_b32_e32 v2, s3
	s_mov_b32 s12, exec_lo
	s_delay_alu instid0(VALU_DEP_2)
	v_cmpx_gt_i64_e64 s[8:9], v[6:7]
	s_cbranch_execz .LBB4_4
; %bb.1:
	v_dual_mov_b32 v3, s10 :: v_dual_mov_b32 v4, s11
	v_dual_mov_b32 v1, s2 :: v_dual_mov_b32 v2, s3
	s_lshl_b64 s[10:11], s[16:17], 8
.LBB4_2:                                ; =>This Inner Loop Header: Depth=1
	v_add_co_u32 v8, vcc_lo, v6, s6
	s_wait_alu 0xfffd
	v_add_co_ci_u32_e64 v9, null, s7, v7, vcc_lo
	s_wait_alu 0xfffe
	v_add_co_u32 v6, s2, s10, v6
	s_wait_alu 0xf1ff
	v_add_co_ci_u32_e64 v7, null, s11, v7, s2
	v_lshlrev_b64_e32 v[10:11], 3, v[8:9]
	s_delay_alu instid0(VALU_DEP_2) | instskip(NEXT) | instid1(VALU_DEP_2)
	v_cmp_le_i64_e64 s2, s[8:9], v[6:7]
	v_add_co_u32 v10, vcc_lo, s4, v10
	s_wait_alu 0xfffd
	s_delay_alu instid0(VALU_DEP_3)
	v_add_co_ci_u32_e64 v11, null, s5, v11, vcc_lo
	s_or_b32 s17, s2, s17
	global_load_b64 v[10:11], v[10:11], off
	s_wait_loadcnt 0x0
	v_cmp_lt_f64_e32 vcc_lo, v[10:11], v[3:4]
	s_wait_alu 0xfffd
	v_dual_cndmask_b32 v4, v4, v11 :: v_dual_cndmask_b32 v3, v3, v10
	v_dual_cndmask_b32 v2, v2, v9 :: v_dual_cndmask_b32 v1, v1, v8
	s_and_not1_b32 exec_lo, exec_lo, s17
	s_cbranch_execnz .LBB4_2
; %bb.3:
	s_or_b32 exec_lo, exec_lo, s17
.LBB4_4:
	s_wait_alu 0xfffe
	s_or_b32 exec_lo, exec_lo, s12
	v_mbcnt_lo_u32_b32 v6, -1, 0
	s_load_b256 s[8:15], s[0:1], 0x38
	s_add_nc_u64 s[4:5], s[0:1], 0x58
	s_delay_alu instid0(VALU_DEP_1) | instskip(SKIP_3) | instid1(VALU_DEP_4)
	v_xor_b32_e32 v7, 1, v6
	v_xor_b32_e32 v9, 2, v6
	;; [unrolled: 1-line block ×3, first 2 shown]
	v_or_b32_e32 v16, 32, v6
	v_cmp_gt_i32_e32 vcc_lo, 32, v7
	s_delay_alu instid0(VALU_DEP_4) | instskip(NEXT) | instid1(VALU_DEP_4)
	v_cmp_gt_i32_e64 s0, 32, v9
	v_cmp_gt_i32_e64 s3, 32, v15
	s_wait_alu 0xfffd
	v_cndmask_b32_e32 v7, v6, v7, vcc_lo
	s_delay_alu instid0(VALU_DEP_3) | instskip(SKIP_2) | instid1(VALU_DEP_3)
	v_cndmask_b32_e64 v9, v6, v9, s0
	s_wait_alu 0xf1ff
	v_cndmask_b32_e64 v15, v6, v15, s3
	v_lshlrev_b32_e32 v10, 2, v7
	s_delay_alu instid0(VALU_DEP_2)
	v_lshlrev_b32_e32 v15, 2, v15
	ds_bpermute_b32 v7, v10, v3
	ds_bpermute_b32 v8, v10, v4
	s_wait_dscnt 0x0
	v_cmp_gt_f64_e32 vcc_lo, v[3:4], v[7:8]
	v_lshlrev_b32_e32 v11, 2, v9
	v_xor_b32_e32 v9, 4, v6
	s_delay_alu instid0(VALU_DEP_1) | instskip(SKIP_1) | instid1(VALU_DEP_1)
	v_cmp_gt_i32_e64 s1, 32, v9
	s_wait_alu 0xf1ff
	v_cndmask_b32_e64 v9, v6, v9, s1
	s_delay_alu instid0(VALU_DEP_1) | instskip(SKIP_1) | instid1(VALU_DEP_1)
	v_lshlrev_b32_e32 v12, 2, v9
	v_xor_b32_e32 v9, 8, v6
	v_cmp_gt_i32_e64 s2, 32, v9
	s_wait_alu 0xf1ff
	s_delay_alu instid0(VALU_DEP_1) | instskip(NEXT) | instid1(VALU_DEP_1)
	v_cndmask_b32_e64 v9, v6, v9, s2
	v_lshlrev_b32_e32 v13, 2, v9
	ds_bpermute_b32 v9, v10, v2
	s_wait_alu 0xfffd
	v_dual_cndmask_b32 v4, v4, v8 :: v_dual_cndmask_b32 v3, v3, v7
	ds_bpermute_b32 v8, v11, v4
	ds_bpermute_b32 v7, v11, v3
	s_wait_dscnt 0x0
	v_cmp_gt_f64_e64 s0, v[3:4], v[7:8]
	s_wait_alu 0xf1ff
	s_delay_alu instid0(VALU_DEP_1)
	v_cndmask_b32_e64 v4, v4, v8, s0
	v_cndmask_b32_e64 v3, v3, v7, s0
	ds_bpermute_b32 v8, v12, v4
	ds_bpermute_b32 v7, v12, v3
	s_wait_dscnt 0x0
	v_cmp_gt_f64_e64 s1, v[3:4], v[7:8]
	s_wait_alu 0xf1ff
	s_delay_alu instid0(VALU_DEP_1)
	v_cndmask_b32_e64 v4, v4, v8, s1
	v_cndmask_b32_e64 v3, v3, v7, s1
	ds_bpermute_b32 v8, v13, v4
	ds_bpermute_b32 v7, v13, v3
	s_wait_dscnt 0x0
	v_cmp_gt_f64_e64 s2, v[3:4], v[7:8]
	s_wait_alu 0xf1ff
	s_delay_alu instid0(VALU_DEP_1)
	v_cndmask_b32_e64 v3, v3, v7, s2
	v_cndmask_b32_e32 v7, v2, v9, vcc_lo
	ds_bpermute_b32 v14, v10, v1
	v_cndmask_b32_e64 v4, v4, v8, s2
	ds_bpermute_b32 v2, v15, v4
	s_wait_dscnt 0x1
	v_cndmask_b32_e32 v8, v1, v14, vcc_lo
	ds_bpermute_b32 v1, v15, v3
	ds_bpermute_b32 v9, v11, v7
	;; [unrolled: 1-line block ×3, first 2 shown]
	s_wait_dscnt 0x2
	v_cmp_gt_f64_e32 vcc_lo, v[3:4], v[1:2]
	s_wait_dscnt 0x1
	v_cndmask_b32_e64 v7, v7, v9, s0
	s_wait_dscnt 0x0
	v_cndmask_b32_e64 v8, v8, v14, s0
	v_cmp_gt_i32_e64 s0, 32, v16
	ds_bpermute_b32 v9, v12, v7
	ds_bpermute_b32 v14, v12, v8
	s_wait_dscnt 0x1
	v_cndmask_b32_e64 v7, v7, v9, s1
	s_wait_alu 0xf1ff
	v_cndmask_b32_e64 v9, v6, v16, s0
	s_wait_dscnt 0x0
	v_cndmask_b32_e64 v8, v8, v14, s1
	s_delay_alu instid0(VALU_DEP_2)
	v_lshlrev_b32_e32 v16, 2, v9
	s_wait_alu 0xfffd
	v_cndmask_b32_e32 v2, v4, v2, vcc_lo
	ds_bpermute_b32 v17, v13, v8
	ds_bpermute_b32 v14, v13, v7
	v_cndmask_b32_e32 v1, v3, v1, vcc_lo
	ds_bpermute_b32 v4, v16, v2
	ds_bpermute_b32 v3, v16, v1
	s_wait_dscnt 0x3
	v_cndmask_b32_e64 v8, v8, v17, s2
	s_wait_dscnt 0x2
	v_cndmask_b32_e64 v7, v7, v14, s2
	ds_bpermute_b32 v14, v15, v8
	s_wait_dscnt 0x1
	v_cmp_gt_f64_e64 s0, v[1:2], v[3:4]
	s_wait_dscnt 0x0
	v_cndmask_b32_e32 v8, v8, v14, vcc_lo
	ds_bpermute_b32 v9, v15, v7
	v_and_b32_e32 v14, 63, v5
	ds_bpermute_b32 v17, v16, v8
	s_wait_alu 0xf1ff
	v_cndmask_b32_e64 v2, v2, v4, s0
	s_wait_dscnt 0x1
	v_cndmask_b32_e32 v7, v7, v9, vcc_lo
	v_cndmask_b32_e64 v1, v1, v3, s0
	s_wait_dscnt 0x0
	v_cndmask_b32_e64 v3, v8, v17, s0
	ds_bpermute_b32 v9, v16, v7
	s_wait_dscnt 0x0
	v_cndmask_b32_e64 v4, v7, v9, s0
	v_cmp_eq_u32_e64 s0, 0, v14
	s_and_saveexec_b32 s1, s0
; %bb.5:
	v_lshrrev_b32_e32 v7, 2, v5
	ds_store_2addr_b64 v7, v[1:2], v[3:4] offset1:1
; %bb.6:
	s_wait_alu 0xfffe
	s_or_b32 exec_lo, exec_lo, s1
	v_cmp_gt_u32_e32 vcc_lo, 64, v5
	s_wait_dscnt 0x0
	s_barrier_signal -1
	s_barrier_wait -1
	global_inv scope:SCOPE_SE
	s_and_saveexec_b32 s6, vcc_lo
	s_cbranch_execz .LBB4_10
; %bb.7:
	v_dual_mov_b32 v3, -1 :: v_dual_mov_b32 v2, 0x7fefffff
	v_dual_mov_b32 v4, -1 :: v_dual_mov_b32 v1, -1
	s_mov_b32 s2, exec_lo
	v_cmpx_gt_u32_e32 4, v14
; %bb.8:
	v_lshlrev_b32_e32 v1, 4, v14
	ds_load_b128 v[1:4], v1
; %bb.9:
	s_wait_alu 0xfffe
	s_or_b32 exec_lo, exec_lo, s2
	s_wait_dscnt 0x0
	ds_bpermute_b32 v9, v10, v2
	ds_bpermute_b32 v7, v10, v1
	;; [unrolled: 1-line block ×3, first 2 shown]
	s_wait_dscnt 0x2
	v_mov_b32_e32 v8, v9
	s_wait_dscnt 0x1
	s_delay_alu instid0(VALU_DEP_1) | instskip(SKIP_1) | instid1(VALU_DEP_1)
	v_cmp_gt_f64_e64 s1, v[1:2], v[7:8]
	s_wait_alu 0xf1ff
	v_cndmask_b32_e64 v2, v2, v9, s1
	v_cndmask_b32_e64 v1, v1, v7, s1
	s_wait_dscnt 0x0
	v_cndmask_b32_e64 v4, v4, v17, s1
	ds_bpermute_b32 v9, v11, v2
	ds_bpermute_b32 v7, v11, v1
	;; [unrolled: 1-line block ×3, first 2 shown]
	s_wait_dscnt 0x2
	v_mov_b32_e32 v8, v9
	s_wait_dscnt 0x1
	s_delay_alu instid0(VALU_DEP_1) | instskip(SKIP_1) | instid1(VALU_DEP_1)
	v_cmp_gt_f64_e64 s2, v[1:2], v[7:8]
	s_wait_alu 0xf1ff
	v_cndmask_b32_e64 v2, v2, v9, s2
	v_cndmask_b32_e64 v1, v1, v7, s2
	ds_bpermute_b32 v9, v12, v2
	ds_bpermute_b32 v7, v12, v1
	s_wait_dscnt 0x1
	v_mov_b32_e32 v8, v9
	s_wait_dscnt 0x0
	s_delay_alu instid0(VALU_DEP_1)
	v_cmp_gt_f64_e64 s3, v[1:2], v[7:8]
	ds_bpermute_b32 v8, v10, v3
	s_wait_dscnt 0x0
	v_cndmask_b32_e64 v8, v3, v8, s1
	ds_bpermute_b32 v17, v11, v8
	s_wait_alu 0xf1ff
	v_cndmask_b32_e64 v2, v2, v9, s3
	v_cndmask_b32_e64 v1, v1, v7, s3
	ds_bpermute_b32 v9, v13, v2
	ds_bpermute_b32 v3, v13, v1
	s_wait_dscnt 0x2
	v_cndmask_b32_e64 v7, v8, v17, s2
	v_cndmask_b32_e64 v8, v4, v18, s2
	ds_bpermute_b32 v17, v12, v7
	ds_bpermute_b32 v18, v12, v8
	s_wait_dscnt 0x3
	v_mov_b32_e32 v4, v9
	s_wait_dscnt 0x2
	s_delay_alu instid0(VALU_DEP_1)
	v_cmp_gt_f64_e64 s1, v[1:2], v[3:4]
	s_wait_dscnt 0x1
	v_cndmask_b32_e64 v7, v7, v17, s3
	s_wait_dscnt 0x0
	v_cndmask_b32_e64 v4, v8, v18, s3
	ds_bpermute_b32 v17, v13, v7
	ds_bpermute_b32 v8, v13, v4
	s_wait_alu 0xf1ff
	v_cndmask_b32_e64 v2, v2, v9, s1
	v_cndmask_b32_e64 v1, v1, v3, s1
	s_wait_dscnt 0x0
	v_cndmask_b32_e64 v4, v4, v8, s1
	v_cndmask_b32_e64 v3, v7, v17, s1
.LBB4_10:
	s_wait_alu 0xfffe
	s_or_b32 exec_lo, exec_lo, s6
	v_dual_mov_b32 v7, 0 :: v_dual_mov_b32 v8, 0
	v_cmp_eq_u32_e64 s1, 0, v5
	s_wait_loadcnt 0x0
	s_barrier_signal -1
	s_barrier_wait -1
	global_inv scope:SCOPE_SE
	s_and_saveexec_b32 s3, s1
	s_cbranch_execz .LBB4_12
; %bb.11:
	s_add_co_i32 s2, s16, -1
	s_mov_b32 s6, ttmp9
	s_ashr_i32 s7, ttmp9, 31
	s_wait_alu 0xfffe
	v_dual_mov_b32 v8, 0 :: v_dual_mov_b32 v9, s2
	s_lshl_b64 s[6:7], s[6:7], 3
	s_wait_kmcnt 0x0
	s_wait_alu 0xfffe
	s_add_nc_u64 s[18:19], s[10:11], s[6:7]
	s_add_nc_u64 s[6:7], s[12:13], s[6:7]
	s_clause 0x1
	global_store_b64 v8, v[1:2], s[18:19]
	global_store_b64 v8, v[3:4], s[6:7]
	s_wait_loadcnt 0x0
	s_wait_storecnt 0x0
	global_inv scope:SCOPE_DEV
	global_atomic_inc_u32 v1, v8, v9, s[14:15] th:TH_ATOMIC_RETURN scope:SCOPE_DEV
	s_wait_loadcnt 0x0
	v_cmp_eq_u32_e64 s2, s2, v1
	s_wait_alu 0xf1ff
	s_delay_alu instid0(VALU_DEP_1)
	v_cndmask_b32_e64 v8, 0, 1, s2
.LBB4_12:
	s_wait_alu 0xfffe
	s_or_b32 exec_lo, exec_lo, s3
	global_load_b32 v1, v7, s[4:5] offset:14
	s_mov_b32 s7, 0
	s_wait_loadcnt 0x0
	v_readfirstlane_b32 s2, v1
	v_or_b32_dpp v1, v8, v8 row_shl:1 row_mask:0xf bank_mask:0xf bound_ctrl:1
	s_wait_kmcnt 0x0
	s_lshr_b32 s14, s2, 16
	s_and_b32 s2, s2, 0xffff
	s_cmp_lt_u32 ttmp9, s16
	v_or_b32_dpp v1, v1, v1 row_shl:2 row_mask:0xf bank_mask:0xf bound_ctrl:1
	s_cselect_b32 s6, 12, 18
	s_wait_alu 0xfffe
	s_add_nc_u64 s[4:5], s[4:5], s[6:7]
	s_load_u16 s3, s[4:5], 0x0
	v_or_b32_dpp v1, v1, v1 row_shl:4 row_mask:0xf bank_mask:0xf bound_ctrl:1
	s_delay_alu instid0(VALU_DEP_1) | instskip(NEXT) | instid1(VALU_DEP_1)
	v_or_b32_dpp v1, v1, v1 row_shl:8 row_mask:0xf bank_mask:0xf bound_ctrl:1
	v_mov_b32_dpp v1, v1 row_share:0 row_mask:0xf bank_mask:0xf bound_ctrl:1
	s_delay_alu instid0(VALU_DEP_1) | instskip(SKIP_2) | instid1(VALU_DEP_1)
	v_permlanex16_b32 v2, v1, 0, 0 op_sel:[0,1]
	s_wait_kmcnt 0x0
	s_mul_i32 s4, s2, s3
	v_or_b32_e32 v2, v2, v1
	s_wait_alu 0xfffe
	s_bfe_i32 s4, s4, 0x180000
	s_wait_alu 0xfffe
	s_mul_i32 s4, s4, s14
	s_wait_alu 0xfffe
	s_add_co_i32 s4, s4, 31
	s_wait_alu 0xfffe
	s_and_not1_b32 s4, s4, 31
	s_wait_alu 0xfffe
	s_cmp_eq_u32 s4, 32
	s_cbranch_scc1 .LBB4_21
; %bb.13:
	v_bfe_u32 v1, v0, 10, 10
	v_bfe_u32 v0, v0, 20, 10
	s_delay_alu instid0(VALU_DEP_1) | instskip(NEXT) | instid1(VALU_DEP_1)
	v_mad_u32_u24 v0, v0, s2, v1
	v_mad_co_u64_u32 v[0:1], null, v0, s3, v[5:6]
	s_mov_b32 s3, exec_lo
	v_lshrrev_b32_e32 v1, 5, v0
	s_delay_alu instid0(VALU_DEP_1) | instskip(NEXT) | instid1(VALU_DEP_1)
	v_or_b32_e32 v1, v1, v6
	v_cmpx_eq_u32_e32 0, v1
; %bb.14:
	v_mov_b32_e32 v1, 0
	ds_store_b32 v1, v2 offset:256
; %bb.15:
	s_wait_alu 0xfffe
	s_or_b32 exec_lo, exec_lo, s3
	v_cmp_eq_u32_e64 s2, 0, v6
	v_cmp_lt_u32_e64 s3, 31, v0
	s_mov_b32 s4, 0
	s_wait_dscnt 0x0
	s_barrier_signal -1
	s_barrier_wait -1
	s_and_b32 s2, s2, s3
	global_inv scope:SCOPE_SE
	s_wait_alu 0xfffe
	s_and_saveexec_b32 s3, s2
	s_cbranch_execz .LBB4_20
; %bb.16:
	s_mov_b32 s2, exec_lo
.LBB4_17:                               ; =>This Inner Loop Header: Depth=1
	s_wait_alu 0xfffe
	s_ctz_i32_b32 s5, s2
	s_wait_alu 0xfffe
	v_readlane_b32 s6, v2, s5
	s_lshl_b32 s5, 1, s5
	s_wait_alu 0xfffe
	s_and_not1_b32 s2, s2, s5
	s_or_b32 s4, s4, s6
	s_wait_alu 0xfffe
	s_cmp_lg_u32 s2, 0
	s_cbranch_scc1 .LBB4_17
; %bb.18:
	v_mbcnt_lo_u32_b32 v0, exec_lo, 0
	s_mov_b32 s5, exec_lo
	s_delay_alu instid0(VALU_DEP_1)
	v_cmpx_eq_u32_e32 0, v0
	s_wait_alu 0xfffe
	s_xor_b32 s5, exec_lo, s5
; %bb.19:
	v_dual_mov_b32 v0, 0 :: v_dual_mov_b32 v1, s4
	ds_or_b32 v0, v1 offset:256
.LBB4_20:
	s_wait_alu 0xfffe
	s_or_b32 exec_lo, exec_lo, s3
	v_mov_b32_e32 v0, 0
	s_wait_loadcnt_dscnt 0x0
	s_barrier_signal -1
	s_barrier_wait -1
	global_inv scope:SCOPE_SE
	ds_load_b32 v2, v0 offset:256
	s_wait_loadcnt_dscnt 0x0
	s_barrier_signal -1
	s_barrier_wait -1
	global_inv scope:SCOPE_SE
.LBB4_21:
	s_mov_b32 s3, exec_lo
	v_cmpx_ne_u32_e32 0, v2
	s_cbranch_execz .LBB4_34
; %bb.22:
	v_dual_mov_b32 v0, -1 :: v_dual_mov_b32 v3, 0x7fefffff
	v_dual_mov_b32 v1, -1 :: v_dual_mov_b32 v2, -1
	s_mov_b32 s4, exec_lo
	s_wait_loadcnt 0x0
	global_inv scope:SCOPE_DEV
	v_cmpx_gt_i32_e64 s16, v5
	s_cbranch_execz .LBB4_26
; %bb.23:
	v_lshlrev_b32_e32 v0, 3, v5
	s_mov_b32 s5, 0
	v_mov_b32_e32 v4, v5
	s_delay_alu instid0(VALU_DEP_2)
	v_add_co_u32 v6, s2, s10, v0
	s_wait_alu 0xf1ff
	v_add_co_ci_u32_e64 v7, null, s11, 0, s2
	v_add_co_u32 v8, s2, s12, v0
	v_mov_b32_e32 v0, -1
	s_wait_alu 0xf1ff
	v_add_co_ci_u32_e64 v9, null, s13, 0, s2
	v_mov_b32_e32 v1, -1
.LBB4_24:                               ; =>This Inner Loop Header: Depth=1
	global_load_b64 v[17:18], v[6:7], off
	global_load_b64 v[19:20], v[8:9], off
	v_add_nc_u32_e32 v4, 0x100, v4
	v_add_co_u32 v6, s3, 0x800, v6
	s_wait_alu 0xf1fe
	v_add_co_ci_u32_e64 v7, null, 0, v7, s3
	v_add_co_u32 v8, s3, 0x800, v8
	s_wait_alu 0xf1ff
	v_add_co_ci_u32_e64 v9, null, 0, v9, s3
	v_cmp_le_i32_e64 s3, s16, v4
	s_or_b32 s5, s3, s5
	s_wait_loadcnt 0x1
	v_cmp_lt_f64_e64 s2, v[17:18], v[2:3]
	s_wait_alu 0xf1ff
	s_delay_alu instid0(VALU_DEP_1)
	v_cndmask_b32_e64 v3, v3, v18, s2
	v_cndmask_b32_e64 v2, v2, v17, s2
	s_wait_loadcnt 0x0
	v_cndmask_b32_e64 v1, v1, v20, s2
	v_cndmask_b32_e64 v0, v0, v19, s2
	s_wait_alu 0xfffe
	s_and_not1_b32 exec_lo, exec_lo, s5
	s_cbranch_execnz .LBB4_24
; %bb.25:
	s_or_b32 exec_lo, exec_lo, s5
.LBB4_26:
	s_wait_alu 0xfffe
	s_or_b32 exec_lo, exec_lo, s4
	ds_bpermute_b32 v6, v10, v2
	ds_bpermute_b32 v7, v10, v3
	;; [unrolled: 1-line block ×4, first 2 shown]
	s_wait_dscnt 0x2
	v_cmp_gt_f64_e64 s2, v[2:3], v[6:7]
	s_wait_alu 0xf1ff
	s_delay_alu instid0(VALU_DEP_1)
	v_cndmask_b32_e64 v3, v3, v7, s2
	v_cndmask_b32_e64 v2, v2, v6, s2
	s_wait_dscnt 0x1
	v_cndmask_b32_e64 v4, v1, v4, s2
	ds_bpermute_b32 v7, v11, v3
	ds_bpermute_b32 v6, v11, v2
	s_wait_dscnt 0x0
	v_cmp_gt_f64_e64 s3, v[2:3], v[6:7]
	s_wait_alu 0xf1ff
	s_delay_alu instid0(VALU_DEP_1)
	v_cndmask_b32_e64 v3, v3, v7, s3
	v_cndmask_b32_e64 v2, v2, v6, s3
	ds_bpermute_b32 v7, v12, v3
	ds_bpermute_b32 v6, v12, v2
	s_wait_dscnt 0x0
	v_cmp_gt_f64_e64 s4, v[2:3], v[6:7]
	s_wait_alu 0xf1ff
	s_delay_alu instid0(VALU_DEP_1)
	v_cndmask_b32_e64 v3, v3, v7, s4
	;; [unrolled: 8-line block ×3, first 2 shown]
	v_cndmask_b32_e64 v2, v2, v6, s5
	v_cndmask_b32_e64 v6, v0, v8, s2
	ds_bpermute_b32 v7, v11, v4
	ds_bpermute_b32 v1, v15, v3
	;; [unrolled: 1-line block ×4, first 2 shown]
	s_wait_dscnt 0x3
	v_cndmask_b32_e64 v4, v4, v7, s3
	s_wait_dscnt 0x1
	v_cmp_gt_f64_e64 s2, v[2:3], v[0:1]
	s_wait_dscnt 0x0
	v_cndmask_b32_e64 v6, v6, v8, s3
	ds_bpermute_b32 v7, v12, v4
	ds_bpermute_b32 v8, v12, v6
	s_wait_dscnt 0x1
	v_cndmask_b32_e64 v4, v4, v7, s4
	s_wait_dscnt 0x0
	v_cndmask_b32_e64 v6, v6, v8, s4
	ds_bpermute_b32 v7, v13, v4
	ds_bpermute_b32 v8, v13, v6
	s_wait_alu 0xf1ff
	v_cndmask_b32_e64 v1, v3, v1, s2
	v_cndmask_b32_e64 v0, v2, v0, s2
	ds_bpermute_b32 v3, v16, v1
	ds_bpermute_b32 v2, v16, v0
	s_wait_dscnt 0x3
	v_cndmask_b32_e64 v4, v4, v7, s5
	s_wait_dscnt 0x2
	v_cndmask_b32_e64 v6, v6, v8, s5
	ds_bpermute_b32 v7, v15, v4
	ds_bpermute_b32 v8, v15, v6
	s_wait_dscnt 0x2
	v_cmp_gt_f64_e64 s3, v[0:1], v[2:3]
	s_wait_dscnt 0x1
	v_cndmask_b32_e64 v4, v4, v7, s2
	s_wait_dscnt 0x0
	v_cndmask_b32_e64 v6, v6, v8, s2
	ds_bpermute_b32 v7, v16, v4
	ds_bpermute_b32 v8, v16, v6
	s_wait_alu 0xf1ff
	v_cndmask_b32_e64 v1, v1, v3, s3
	v_cndmask_b32_e64 v0, v0, v2, s3
	s_wait_dscnt 0x1
	v_cndmask_b32_e64 v3, v4, v7, s3
	s_wait_dscnt 0x0
	v_cndmask_b32_e64 v2, v6, v8, s3
	s_and_saveexec_b32 s2, s0
; %bb.27:
	v_lshrrev_b32_e32 v4, 2, v5
	ds_store_2addr_b64 v4, v[0:1], v[2:3] offset1:1
; %bb.28:
	s_wait_alu 0xfffe
	s_or_b32 exec_lo, exec_lo, s2
	s_wait_loadcnt_dscnt 0x0
	s_barrier_signal -1
	s_barrier_wait -1
	global_inv scope:SCOPE_SE
	s_and_saveexec_b32 s3, vcc_lo
	s_cbranch_execz .LBB4_32
; %bb.29:
	v_dual_mov_b32 v2, -1 :: v_dual_mov_b32 v1, 0x7fefffff
	v_dual_mov_b32 v3, -1 :: v_dual_mov_b32 v0, -1
	s_mov_b32 s0, exec_lo
	v_cmpx_gt_u32_e32 4, v14
; %bb.30:
	v_lshlrev_b32_e32 v0, 4, v14
	ds_load_b128 v[0:3], v0
; %bb.31:
	s_wait_alu 0xfffe
	s_or_b32 exec_lo, exec_lo, s0
	s_wait_dscnt 0x0
	ds_bpermute_b32 v6, v10, v1
	ds_bpermute_b32 v4, v10, v0
	;; [unrolled: 1-line block ×3, first 2 shown]
	s_wait_dscnt 0x2
	v_mov_b32_e32 v5, v6
	s_wait_dscnt 0x1
	s_delay_alu instid0(VALU_DEP_1)
	v_cmp_gt_f64_e32 vcc_lo, v[0:1], v[4:5]
	s_wait_alu 0xfffd
	v_dual_cndmask_b32 v1, v1, v6 :: v_dual_cndmask_b32 v0, v0, v4
	s_wait_dscnt 0x0
	v_cndmask_b32_e32 v3, v3, v7, vcc_lo
	ds_bpermute_b32 v6, v11, v1
	ds_bpermute_b32 v4, v11, v0
	;; [unrolled: 1-line block ×3, first 2 shown]
	s_wait_dscnt 0x2
	v_mov_b32_e32 v5, v6
	s_wait_dscnt 0x1
	s_delay_alu instid0(VALU_DEP_1) | instskip(SKIP_1) | instid1(VALU_DEP_1)
	v_cmp_gt_f64_e64 s0, v[0:1], v[4:5]
	s_wait_alu 0xf1ff
	v_cndmask_b32_e64 v1, v1, v6, s0
	v_cndmask_b32_e64 v0, v0, v4, s0
	ds_bpermute_b32 v6, v12, v1
	ds_bpermute_b32 v4, v12, v0
	s_wait_dscnt 0x1
	v_mov_b32_e32 v5, v6
	s_wait_dscnt 0x0
	s_delay_alu instid0(VALU_DEP_1)
	v_cmp_gt_f64_e64 s2, v[0:1], v[4:5]
	ds_bpermute_b32 v5, v10, v2
	s_wait_dscnt 0x0
	v_cndmask_b32_e32 v5, v2, v5, vcc_lo
	ds_bpermute_b32 v7, v11, v5
	s_wait_alu 0xf1ff
	v_cndmask_b32_e64 v1, v1, v6, s2
	v_cndmask_b32_e64 v0, v0, v4, s2
	ds_bpermute_b32 v6, v13, v1
	ds_bpermute_b32 v2, v13, v0
	s_wait_dscnt 0x2
	v_cndmask_b32_e64 v4, v5, v7, s0
	v_cndmask_b32_e64 v5, v3, v8, s0
	ds_bpermute_b32 v7, v12, v4
	ds_bpermute_b32 v8, v12, v5
	s_wait_dscnt 0x3
	v_mov_b32_e32 v3, v6
	s_wait_dscnt 0x2
	s_delay_alu instid0(VALU_DEP_1)
	v_cmp_gt_f64_e32 vcc_lo, v[0:1], v[2:3]
	s_wait_dscnt 0x1
	v_cndmask_b32_e64 v4, v4, v7, s2
	s_wait_dscnt 0x0
	v_cndmask_b32_e64 v3, v5, v8, s2
	ds_bpermute_b32 v7, v13, v4
	ds_bpermute_b32 v5, v13, v3
	s_wait_alu 0xfffd
	v_cndmask_b32_e32 v1, v1, v6, vcc_lo
	s_wait_dscnt 0x0
	v_dual_cndmask_b32 v0, v0, v2 :: v_dual_cndmask_b32 v3, v3, v5
	v_cndmask_b32_e32 v2, v4, v7, vcc_lo
.LBB4_32:
	s_wait_alu 0xfffe
	s_or_b32 exec_lo, exec_lo, s3
	s_wait_loadcnt 0x0
	s_barrier_signal -1
	s_barrier_wait -1
	global_inv scope:SCOPE_SE
	s_and_b32 exec_lo, exec_lo, s1
	s_cbranch_execz .LBB4_34
; %bb.33:
	v_mov_b32_e32 v4, 0
	global_store_b128 v4, v[0:3], s[8:9]
.LBB4_34:
	s_endpgm
	.section	.rodata,"a",@progbits
	.p2align	6, 0x0
	.amdhsa_kernel _ZN4RAJA6policy3hip4impl18forallp_hip_kernelINS1_8hip_execINS_17iteration_mapping11StridedLoopILm0EEENS_3hip11IndexGlobalILNS_9named_dimE0ELi256ELi0EEENS8_40AvoidDeviceMaxThreadOccupancyConcretizerINS8_34FractionOffsetOccupancyConcretizerINS_8FractionImLm1ELm1EEELln1EEEEELb1EEENS_9Iterators16numeric_iteratorIllPlEEZN8rajaperf5lcals9FIRST_MIN26runHipVariantRAJANewReduceILm256ENSN_11gpu_mapping40global_loop_occupancy_grid_stride_helperEEEvNSN_9VariantIDEEUllRNS_4expt5ValOpINSU_6ValLocIdlEENS_9operators7minimumEEEE_lNSU_15ForallParamPackIJNSU_6detail7ReducerINSZ_ISX_SX_SX_EESX_S10_EEEEES7_SB_TnNSt9enable_ifIXaaaasr3std10is_base_ofINS5_15StridedLoopBaseET4_EE5valuesr3std10is_base_ofINS5_15UnsizedLoopBaseES1B_EE5valuegtsrT5_10block_sizeLi0EEmE4typeELm256EEEvT1_T0_T2_T3_
		.amdhsa_group_segment_fixed_size 512
		.amdhsa_private_segment_fixed_size 0
		.amdhsa_kernarg_size 344
		.amdhsa_user_sgpr_count 2
		.amdhsa_user_sgpr_dispatch_ptr 0
		.amdhsa_user_sgpr_queue_ptr 0
		.amdhsa_user_sgpr_kernarg_segment_ptr 1
		.amdhsa_user_sgpr_dispatch_id 0
		.amdhsa_user_sgpr_private_segment_size 0
		.amdhsa_wavefront_size32 1
		.amdhsa_uses_dynamic_stack 0
		.amdhsa_enable_private_segment 0
		.amdhsa_system_sgpr_workgroup_id_x 1
		.amdhsa_system_sgpr_workgroup_id_y 0
		.amdhsa_system_sgpr_workgroup_id_z 0
		.amdhsa_system_sgpr_workgroup_info 0
		.amdhsa_system_vgpr_workitem_id 2
		.amdhsa_next_free_vgpr 21
		.amdhsa_next_free_sgpr 20
		.amdhsa_reserve_vcc 1
		.amdhsa_float_round_mode_32 0
		.amdhsa_float_round_mode_16_64 0
		.amdhsa_float_denorm_mode_32 3
		.amdhsa_float_denorm_mode_16_64 3
		.amdhsa_fp16_overflow 0
		.amdhsa_workgroup_processor_mode 1
		.amdhsa_memory_ordered 1
		.amdhsa_forward_progress 1
		.amdhsa_inst_pref_size 28
		.amdhsa_round_robin_scheduling 0
		.amdhsa_exception_fp_ieee_invalid_op 0
		.amdhsa_exception_fp_denorm_src 0
		.amdhsa_exception_fp_ieee_div_zero 0
		.amdhsa_exception_fp_ieee_overflow 0
		.amdhsa_exception_fp_ieee_underflow 0
		.amdhsa_exception_fp_ieee_inexact 0
		.amdhsa_exception_int_div_zero 0
	.end_amdhsa_kernel
	.section	.text._ZN4RAJA6policy3hip4impl18forallp_hip_kernelINS1_8hip_execINS_17iteration_mapping11StridedLoopILm0EEENS_3hip11IndexGlobalILNS_9named_dimE0ELi256ELi0EEENS8_40AvoidDeviceMaxThreadOccupancyConcretizerINS8_34FractionOffsetOccupancyConcretizerINS_8FractionImLm1ELm1EEELln1EEEEELb1EEENS_9Iterators16numeric_iteratorIllPlEEZN8rajaperf5lcals9FIRST_MIN26runHipVariantRAJANewReduceILm256ENSN_11gpu_mapping40global_loop_occupancy_grid_stride_helperEEEvNSN_9VariantIDEEUllRNS_4expt5ValOpINSU_6ValLocIdlEENS_9operators7minimumEEEE_lNSU_15ForallParamPackIJNSU_6detail7ReducerINSZ_ISX_SX_SX_EESX_S10_EEEEES7_SB_TnNSt9enable_ifIXaaaasr3std10is_base_ofINS5_15StridedLoopBaseET4_EE5valuesr3std10is_base_ofINS5_15UnsizedLoopBaseES1B_EE5valuegtsrT5_10block_sizeLi0EEmE4typeELm256EEEvT1_T0_T2_T3_,"axG",@progbits,_ZN4RAJA6policy3hip4impl18forallp_hip_kernelINS1_8hip_execINS_17iteration_mapping11StridedLoopILm0EEENS_3hip11IndexGlobalILNS_9named_dimE0ELi256ELi0EEENS8_40AvoidDeviceMaxThreadOccupancyConcretizerINS8_34FractionOffsetOccupancyConcretizerINS_8FractionImLm1ELm1EEELln1EEEEELb1EEENS_9Iterators16numeric_iteratorIllPlEEZN8rajaperf5lcals9FIRST_MIN26runHipVariantRAJANewReduceILm256ENSN_11gpu_mapping40global_loop_occupancy_grid_stride_helperEEEvNSN_9VariantIDEEUllRNS_4expt5ValOpINSU_6ValLocIdlEENS_9operators7minimumEEEE_lNSU_15ForallParamPackIJNSU_6detail7ReducerINSZ_ISX_SX_SX_EESX_S10_EEEEES7_SB_TnNSt9enable_ifIXaaaasr3std10is_base_ofINS5_15StridedLoopBaseET4_EE5valuesr3std10is_base_ofINS5_15UnsizedLoopBaseES1B_EE5valuegtsrT5_10block_sizeLi0EEmE4typeELm256EEEvT1_T0_T2_T3_,comdat
.Lfunc_end4:
	.size	_ZN4RAJA6policy3hip4impl18forallp_hip_kernelINS1_8hip_execINS_17iteration_mapping11StridedLoopILm0EEENS_3hip11IndexGlobalILNS_9named_dimE0ELi256ELi0EEENS8_40AvoidDeviceMaxThreadOccupancyConcretizerINS8_34FractionOffsetOccupancyConcretizerINS_8FractionImLm1ELm1EEELln1EEEEELb1EEENS_9Iterators16numeric_iteratorIllPlEEZN8rajaperf5lcals9FIRST_MIN26runHipVariantRAJANewReduceILm256ENSN_11gpu_mapping40global_loop_occupancy_grid_stride_helperEEEvNSN_9VariantIDEEUllRNS_4expt5ValOpINSU_6ValLocIdlEENS_9operators7minimumEEEE_lNSU_15ForallParamPackIJNSU_6detail7ReducerINSZ_ISX_SX_SX_EESX_S10_EEEEES7_SB_TnNSt9enable_ifIXaaaasr3std10is_base_ofINS5_15StridedLoopBaseET4_EE5valuesr3std10is_base_ofINS5_15UnsizedLoopBaseES1B_EE5valuegtsrT5_10block_sizeLi0EEmE4typeELm256EEEvT1_T0_T2_T3_, .Lfunc_end4-_ZN4RAJA6policy3hip4impl18forallp_hip_kernelINS1_8hip_execINS_17iteration_mapping11StridedLoopILm0EEENS_3hip11IndexGlobalILNS_9named_dimE0ELi256ELi0EEENS8_40AvoidDeviceMaxThreadOccupancyConcretizerINS8_34FractionOffsetOccupancyConcretizerINS_8FractionImLm1ELm1EEELln1EEEEELb1EEENS_9Iterators16numeric_iteratorIllPlEEZN8rajaperf5lcals9FIRST_MIN26runHipVariantRAJANewReduceILm256ENSN_11gpu_mapping40global_loop_occupancy_grid_stride_helperEEEvNSN_9VariantIDEEUllRNS_4expt5ValOpINSU_6ValLocIdlEENS_9operators7minimumEEEE_lNSU_15ForallParamPackIJNSU_6detail7ReducerINSZ_ISX_SX_SX_EESX_S10_EEEEES7_SB_TnNSt9enable_ifIXaaaasr3std10is_base_ofINS5_15StridedLoopBaseET4_EE5valuesr3std10is_base_ofINS5_15UnsizedLoopBaseES1B_EE5valuegtsrT5_10block_sizeLi0EEmE4typeELm256EEEvT1_T0_T2_T3_
                                        ; -- End function
	.set _ZN4RAJA6policy3hip4impl18forallp_hip_kernelINS1_8hip_execINS_17iteration_mapping11StridedLoopILm0EEENS_3hip11IndexGlobalILNS_9named_dimE0ELi256ELi0EEENS8_40AvoidDeviceMaxThreadOccupancyConcretizerINS8_34FractionOffsetOccupancyConcretizerINS_8FractionImLm1ELm1EEELln1EEEEELb1EEENS_9Iterators16numeric_iteratorIllPlEEZN8rajaperf5lcals9FIRST_MIN26runHipVariantRAJANewReduceILm256ENSN_11gpu_mapping40global_loop_occupancy_grid_stride_helperEEEvNSN_9VariantIDEEUllRNS_4expt5ValOpINSU_6ValLocIdlEENS_9operators7minimumEEEE_lNSU_15ForallParamPackIJNSU_6detail7ReducerINSZ_ISX_SX_SX_EESX_S10_EEEEES7_SB_TnNSt9enable_ifIXaaaasr3std10is_base_ofINS5_15StridedLoopBaseET4_EE5valuesr3std10is_base_ofINS5_15UnsizedLoopBaseES1B_EE5valuegtsrT5_10block_sizeLi0EEmE4typeELm256EEEvT1_T0_T2_T3_.num_vgpr, 21
	.set _ZN4RAJA6policy3hip4impl18forallp_hip_kernelINS1_8hip_execINS_17iteration_mapping11StridedLoopILm0EEENS_3hip11IndexGlobalILNS_9named_dimE0ELi256ELi0EEENS8_40AvoidDeviceMaxThreadOccupancyConcretizerINS8_34FractionOffsetOccupancyConcretizerINS_8FractionImLm1ELm1EEELln1EEEEELb1EEENS_9Iterators16numeric_iteratorIllPlEEZN8rajaperf5lcals9FIRST_MIN26runHipVariantRAJANewReduceILm256ENSN_11gpu_mapping40global_loop_occupancy_grid_stride_helperEEEvNSN_9VariantIDEEUllRNS_4expt5ValOpINSU_6ValLocIdlEENS_9operators7minimumEEEE_lNSU_15ForallParamPackIJNSU_6detail7ReducerINSZ_ISX_SX_SX_EESX_S10_EEEEES7_SB_TnNSt9enable_ifIXaaaasr3std10is_base_ofINS5_15StridedLoopBaseET4_EE5valuesr3std10is_base_ofINS5_15UnsizedLoopBaseES1B_EE5valuegtsrT5_10block_sizeLi0EEmE4typeELm256EEEvT1_T0_T2_T3_.num_agpr, 0
	.set _ZN4RAJA6policy3hip4impl18forallp_hip_kernelINS1_8hip_execINS_17iteration_mapping11StridedLoopILm0EEENS_3hip11IndexGlobalILNS_9named_dimE0ELi256ELi0EEENS8_40AvoidDeviceMaxThreadOccupancyConcretizerINS8_34FractionOffsetOccupancyConcretizerINS_8FractionImLm1ELm1EEELln1EEEEELb1EEENS_9Iterators16numeric_iteratorIllPlEEZN8rajaperf5lcals9FIRST_MIN26runHipVariantRAJANewReduceILm256ENSN_11gpu_mapping40global_loop_occupancy_grid_stride_helperEEEvNSN_9VariantIDEEUllRNS_4expt5ValOpINSU_6ValLocIdlEENS_9operators7minimumEEEE_lNSU_15ForallParamPackIJNSU_6detail7ReducerINSZ_ISX_SX_SX_EESX_S10_EEEEES7_SB_TnNSt9enable_ifIXaaaasr3std10is_base_ofINS5_15StridedLoopBaseET4_EE5valuesr3std10is_base_ofINS5_15UnsizedLoopBaseES1B_EE5valuegtsrT5_10block_sizeLi0EEmE4typeELm256EEEvT1_T0_T2_T3_.numbered_sgpr, 20
	.set _ZN4RAJA6policy3hip4impl18forallp_hip_kernelINS1_8hip_execINS_17iteration_mapping11StridedLoopILm0EEENS_3hip11IndexGlobalILNS_9named_dimE0ELi256ELi0EEENS8_40AvoidDeviceMaxThreadOccupancyConcretizerINS8_34FractionOffsetOccupancyConcretizerINS_8FractionImLm1ELm1EEELln1EEEEELb1EEENS_9Iterators16numeric_iteratorIllPlEEZN8rajaperf5lcals9FIRST_MIN26runHipVariantRAJANewReduceILm256ENSN_11gpu_mapping40global_loop_occupancy_grid_stride_helperEEEvNSN_9VariantIDEEUllRNS_4expt5ValOpINSU_6ValLocIdlEENS_9operators7minimumEEEE_lNSU_15ForallParamPackIJNSU_6detail7ReducerINSZ_ISX_SX_SX_EESX_S10_EEEEES7_SB_TnNSt9enable_ifIXaaaasr3std10is_base_ofINS5_15StridedLoopBaseET4_EE5valuesr3std10is_base_ofINS5_15UnsizedLoopBaseES1B_EE5valuegtsrT5_10block_sizeLi0EEmE4typeELm256EEEvT1_T0_T2_T3_.num_named_barrier, 0
	.set _ZN4RAJA6policy3hip4impl18forallp_hip_kernelINS1_8hip_execINS_17iteration_mapping11StridedLoopILm0EEENS_3hip11IndexGlobalILNS_9named_dimE0ELi256ELi0EEENS8_40AvoidDeviceMaxThreadOccupancyConcretizerINS8_34FractionOffsetOccupancyConcretizerINS_8FractionImLm1ELm1EEELln1EEEEELb1EEENS_9Iterators16numeric_iteratorIllPlEEZN8rajaperf5lcals9FIRST_MIN26runHipVariantRAJANewReduceILm256ENSN_11gpu_mapping40global_loop_occupancy_grid_stride_helperEEEvNSN_9VariantIDEEUllRNS_4expt5ValOpINSU_6ValLocIdlEENS_9operators7minimumEEEE_lNSU_15ForallParamPackIJNSU_6detail7ReducerINSZ_ISX_SX_SX_EESX_S10_EEEEES7_SB_TnNSt9enable_ifIXaaaasr3std10is_base_ofINS5_15StridedLoopBaseET4_EE5valuesr3std10is_base_ofINS5_15UnsizedLoopBaseES1B_EE5valuegtsrT5_10block_sizeLi0EEmE4typeELm256EEEvT1_T0_T2_T3_.private_seg_size, 0
	.set _ZN4RAJA6policy3hip4impl18forallp_hip_kernelINS1_8hip_execINS_17iteration_mapping11StridedLoopILm0EEENS_3hip11IndexGlobalILNS_9named_dimE0ELi256ELi0EEENS8_40AvoidDeviceMaxThreadOccupancyConcretizerINS8_34FractionOffsetOccupancyConcretizerINS_8FractionImLm1ELm1EEELln1EEEEELb1EEENS_9Iterators16numeric_iteratorIllPlEEZN8rajaperf5lcals9FIRST_MIN26runHipVariantRAJANewReduceILm256ENSN_11gpu_mapping40global_loop_occupancy_grid_stride_helperEEEvNSN_9VariantIDEEUllRNS_4expt5ValOpINSU_6ValLocIdlEENS_9operators7minimumEEEE_lNSU_15ForallParamPackIJNSU_6detail7ReducerINSZ_ISX_SX_SX_EESX_S10_EEEEES7_SB_TnNSt9enable_ifIXaaaasr3std10is_base_ofINS5_15StridedLoopBaseET4_EE5valuesr3std10is_base_ofINS5_15UnsizedLoopBaseES1B_EE5valuegtsrT5_10block_sizeLi0EEmE4typeELm256EEEvT1_T0_T2_T3_.uses_vcc, 1
	.set _ZN4RAJA6policy3hip4impl18forallp_hip_kernelINS1_8hip_execINS_17iteration_mapping11StridedLoopILm0EEENS_3hip11IndexGlobalILNS_9named_dimE0ELi256ELi0EEENS8_40AvoidDeviceMaxThreadOccupancyConcretizerINS8_34FractionOffsetOccupancyConcretizerINS_8FractionImLm1ELm1EEELln1EEEEELb1EEENS_9Iterators16numeric_iteratorIllPlEEZN8rajaperf5lcals9FIRST_MIN26runHipVariantRAJANewReduceILm256ENSN_11gpu_mapping40global_loop_occupancy_grid_stride_helperEEEvNSN_9VariantIDEEUllRNS_4expt5ValOpINSU_6ValLocIdlEENS_9operators7minimumEEEE_lNSU_15ForallParamPackIJNSU_6detail7ReducerINSZ_ISX_SX_SX_EESX_S10_EEEEES7_SB_TnNSt9enable_ifIXaaaasr3std10is_base_ofINS5_15StridedLoopBaseET4_EE5valuesr3std10is_base_ofINS5_15UnsizedLoopBaseES1B_EE5valuegtsrT5_10block_sizeLi0EEmE4typeELm256EEEvT1_T0_T2_T3_.uses_flat_scratch, 0
	.set _ZN4RAJA6policy3hip4impl18forallp_hip_kernelINS1_8hip_execINS_17iteration_mapping11StridedLoopILm0EEENS_3hip11IndexGlobalILNS_9named_dimE0ELi256ELi0EEENS8_40AvoidDeviceMaxThreadOccupancyConcretizerINS8_34FractionOffsetOccupancyConcretizerINS_8FractionImLm1ELm1EEELln1EEEEELb1EEENS_9Iterators16numeric_iteratorIllPlEEZN8rajaperf5lcals9FIRST_MIN26runHipVariantRAJANewReduceILm256ENSN_11gpu_mapping40global_loop_occupancy_grid_stride_helperEEEvNSN_9VariantIDEEUllRNS_4expt5ValOpINSU_6ValLocIdlEENS_9operators7minimumEEEE_lNSU_15ForallParamPackIJNSU_6detail7ReducerINSZ_ISX_SX_SX_EESX_S10_EEEEES7_SB_TnNSt9enable_ifIXaaaasr3std10is_base_ofINS5_15StridedLoopBaseET4_EE5valuesr3std10is_base_ofINS5_15UnsizedLoopBaseES1B_EE5valuegtsrT5_10block_sizeLi0EEmE4typeELm256EEEvT1_T0_T2_T3_.has_dyn_sized_stack, 0
	.set _ZN4RAJA6policy3hip4impl18forallp_hip_kernelINS1_8hip_execINS_17iteration_mapping11StridedLoopILm0EEENS_3hip11IndexGlobalILNS_9named_dimE0ELi256ELi0EEENS8_40AvoidDeviceMaxThreadOccupancyConcretizerINS8_34FractionOffsetOccupancyConcretizerINS_8FractionImLm1ELm1EEELln1EEEEELb1EEENS_9Iterators16numeric_iteratorIllPlEEZN8rajaperf5lcals9FIRST_MIN26runHipVariantRAJANewReduceILm256ENSN_11gpu_mapping40global_loop_occupancy_grid_stride_helperEEEvNSN_9VariantIDEEUllRNS_4expt5ValOpINSU_6ValLocIdlEENS_9operators7minimumEEEE_lNSU_15ForallParamPackIJNSU_6detail7ReducerINSZ_ISX_SX_SX_EESX_S10_EEEEES7_SB_TnNSt9enable_ifIXaaaasr3std10is_base_ofINS5_15StridedLoopBaseET4_EE5valuesr3std10is_base_ofINS5_15UnsizedLoopBaseES1B_EE5valuegtsrT5_10block_sizeLi0EEmE4typeELm256EEEvT1_T0_T2_T3_.has_recursion, 0
	.set _ZN4RAJA6policy3hip4impl18forallp_hip_kernelINS1_8hip_execINS_17iteration_mapping11StridedLoopILm0EEENS_3hip11IndexGlobalILNS_9named_dimE0ELi256ELi0EEENS8_40AvoidDeviceMaxThreadOccupancyConcretizerINS8_34FractionOffsetOccupancyConcretizerINS_8FractionImLm1ELm1EEELln1EEEEELb1EEENS_9Iterators16numeric_iteratorIllPlEEZN8rajaperf5lcals9FIRST_MIN26runHipVariantRAJANewReduceILm256ENSN_11gpu_mapping40global_loop_occupancy_grid_stride_helperEEEvNSN_9VariantIDEEUllRNS_4expt5ValOpINSU_6ValLocIdlEENS_9operators7minimumEEEE_lNSU_15ForallParamPackIJNSU_6detail7ReducerINSZ_ISX_SX_SX_EESX_S10_EEEEES7_SB_TnNSt9enable_ifIXaaaasr3std10is_base_ofINS5_15StridedLoopBaseET4_EE5valuesr3std10is_base_ofINS5_15UnsizedLoopBaseES1B_EE5valuegtsrT5_10block_sizeLi0EEmE4typeELm256EEEvT1_T0_T2_T3_.has_indirect_call, 0
	.section	.AMDGPU.csdata,"",@progbits
; Kernel info:
; codeLenInByte = 3524
; TotalNumSgprs: 22
; NumVgprs: 21
; ScratchSize: 0
; MemoryBound: 0
; FloatMode: 240
; IeeeMode: 1
; LDSByteSize: 512 bytes/workgroup (compile time only)
; SGPRBlocks: 0
; VGPRBlocks: 2
; NumSGPRsForWavesPerEU: 22
; NumVGPRsForWavesPerEU: 21
; Occupancy: 16
; WaveLimiterHint : 0
; COMPUTE_PGM_RSRC2:SCRATCH_EN: 0
; COMPUTE_PGM_RSRC2:USER_SGPR: 2
; COMPUTE_PGM_RSRC2:TRAP_HANDLER: 0
; COMPUTE_PGM_RSRC2:TGID_X_EN: 1
; COMPUTE_PGM_RSRC2:TGID_Y_EN: 0
; COMPUTE_PGM_RSRC2:TGID_Z_EN: 0
; COMPUTE_PGM_RSRC2:TIDIG_COMP_CNT: 2
	.section	.AMDGPU.gpr_maximums,"",@progbits
	.set amdgpu.max_num_vgpr, 0
	.set amdgpu.max_num_agpr, 0
	.set amdgpu.max_num_sgpr, 0
	.section	.AMDGPU.csdata,"",@progbits
	.type	__hip_cuid_499490bbd16830cc,@object ; @__hip_cuid_499490bbd16830cc
	.section	.bss,"aw",@nobits
	.globl	__hip_cuid_499490bbd16830cc
__hip_cuid_499490bbd16830cc:
	.byte	0                               ; 0x0
	.size	__hip_cuid_499490bbd16830cc, 1

	.ident	"AMD clang version 22.0.0git (https://github.com/RadeonOpenCompute/llvm-project roc-7.2.4 26084 f58b06dce1f9c15707c5f808fd002e18c2accf7e)"
	.section	".note.GNU-stack","",@progbits
	.addrsig
	.addrsig_sym __hip_cuid_499490bbd16830cc
	.amdgpu_metadata
---
amdhsa.kernels:
  - .args:
      - .address_space:  global
        .offset:         0
        .size:           8
        .value_kind:     global_buffer
      - .address_space:  global
        .offset:         8
        .size:           8
        .value_kind:     global_buffer
      - .offset:         16
        .size:           16
        .value_kind:     by_value
      - .offset:         32
        .size:           8
        .value_kind:     by_value
      - .offset:         40
        .size:           4
        .value_kind:     hidden_block_count_x
      - .offset:         44
        .size:           4
        .value_kind:     hidden_block_count_y
      - .offset:         48
        .size:           4
        .value_kind:     hidden_block_count_z
      - .offset:         52
        .size:           2
        .value_kind:     hidden_group_size_x
      - .offset:         54
        .size:           2
        .value_kind:     hidden_group_size_y
      - .offset:         56
        .size:           2
        .value_kind:     hidden_group_size_z
      - .offset:         58
        .size:           2
        .value_kind:     hidden_remainder_x
      - .offset:         60
        .size:           2
        .value_kind:     hidden_remainder_y
      - .offset:         62
        .size:           2
        .value_kind:     hidden_remainder_z
      - .offset:         80
        .size:           8
        .value_kind:     hidden_global_offset_x
      - .offset:         88
        .size:           8
        .value_kind:     hidden_global_offset_y
      - .offset:         96
        .size:           8
        .value_kind:     hidden_global_offset_z
      - .offset:         104
        .size:           2
        .value_kind:     hidden_grid_dims
      - .offset:         160
        .size:           4
        .value_kind:     hidden_dynamic_lds_size
    .group_segment_fixed_size: 0
    .kernarg_segment_align: 8
    .kernarg_segment_size: 296
    .language:       OpenCL C
    .language_version:
      - 2
      - 0
    .max_flat_workgroup_size: 256
    .name:           _ZN8rajaperf5lcals9first_minILm256EEEvPdP8MyMinLocS3_l
    .private_segment_fixed_size: 0
    .sgpr_count:     18
    .sgpr_spill_count: 0
    .symbol:         _ZN8rajaperf5lcals9first_minILm256EEEvPdP8MyMinLocS3_l.kd
    .uniform_work_group_size: 1
    .uses_dynamic_stack: false
    .vgpr_count:     10
    .vgpr_spill_count: 0
    .wavefront_size: 32
    .workgroup_processor_mode: 1
  - .args:
      - .offset:         0
        .size:           88
        .value_kind:     by_value
      - .offset:         88
        .size:           8
        .value_kind:     by_value
      - .offset:         96
        .size:           8
        .value_kind:     by_value
      - .offset:         104
        .size:           1
        .value_kind:     by_value
      - .offset:         112
        .size:           4
        .value_kind:     hidden_block_count_x
      - .offset:         116
        .size:           4
        .value_kind:     hidden_block_count_y
      - .offset:         120
        .size:           4
        .value_kind:     hidden_block_count_z
      - .offset:         124
        .size:           2
        .value_kind:     hidden_group_size_x
      - .offset:         126
        .size:           2
        .value_kind:     hidden_group_size_y
      - .offset:         128
        .size:           2
        .value_kind:     hidden_group_size_z
      - .offset:         130
        .size:           2
        .value_kind:     hidden_remainder_x
      - .offset:         132
        .size:           2
        .value_kind:     hidden_remainder_y
      - .offset:         134
        .size:           2
        .value_kind:     hidden_remainder_z
      - .offset:         152
        .size:           8
        .value_kind:     hidden_global_offset_x
      - .offset:         160
        .size:           8
        .value_kind:     hidden_global_offset_y
      - .offset:         168
        .size:           8
        .value_kind:     hidden_global_offset_z
      - .offset:         176
        .size:           2
        .value_kind:     hidden_grid_dims
    .group_segment_fixed_size: 257
    .kernarg_segment_align: 8
    .kernarg_segment_size: 368
    .language:       OpenCL C
    .language_version:
      - 2
      - 0
    .max_flat_workgroup_size: 256
    .name:           _ZN4RAJA6policy3hip4impl18forallp_hip_kernelINS1_8hip_execINS_17iteration_mapping6DirectENS_3hip11IndexGlobalILNS_9named_dimE0ELi256ELi0EEENS7_40AvoidDeviceMaxThreadOccupancyConcretizerINS7_34FractionOffsetOccupancyConcretizerINS_8FractionImLm1ELm1EEELln1EEEEELb1EEENS_9Iterators16numeric_iteratorIllPlEEZN8rajaperf5lcals9FIRST_MIN17runHipVariantRAJAILm256ENSM_11gpu_mapping20global_direct_helperEEEvNSM_9VariantIDEEUllE_lNS_4expt15ForallParamPackIJEEES6_SA_TnNSt9enable_ifIXaasr3std10is_base_ofINS5_10DirectBaseET4_EE5valuegtsrT5_10block_sizeLi0EEmE4typeELm256EEEvT1_T0_T2_T3_
    .private_segment_fixed_size: 0
    .sgpr_count:     32
    .sgpr_spill_count: 0
    .symbol:         _ZN4RAJA6policy3hip4impl18forallp_hip_kernelINS1_8hip_execINS_17iteration_mapping6DirectENS_3hip11IndexGlobalILNS_9named_dimE0ELi256ELi0EEENS7_40AvoidDeviceMaxThreadOccupancyConcretizerINS7_34FractionOffsetOccupancyConcretizerINS_8FractionImLm1ELm1EEELln1EEEEELb1EEENS_9Iterators16numeric_iteratorIllPlEEZN8rajaperf5lcals9FIRST_MIN17runHipVariantRAJAILm256ENSM_11gpu_mapping20global_direct_helperEEEvNSM_9VariantIDEEUllE_lNS_4expt15ForallParamPackIJEEES6_SA_TnNSt9enable_ifIXaasr3std10is_base_ofINS5_10DirectBaseET4_EE5valuegtsrT5_10block_sizeLi0EEmE4typeELm256EEEvT1_T0_T2_T3_.kd
    .uniform_work_group_size: 1
    .uses_dynamic_stack: false
    .vgpr_count:     30
    .vgpr_spill_count: 0
    .wavefront_size: 32
    .workgroup_processor_mode: 1
  - .args:
      - .address_space:  global
        .offset:         0
        .size:           8
        .value_kind:     global_buffer
      - .offset:         8
        .size:           8
        .value_kind:     by_value
      - .offset:         16
        .size:           8
        .value_kind:     by_value
      - .offset:         24
        .size:           64
        .value_kind:     by_value
      - .offset:         88
        .size:           4
        .value_kind:     hidden_block_count_x
      - .offset:         92
        .size:           4
        .value_kind:     hidden_block_count_y
      - .offset:         96
        .size:           4
        .value_kind:     hidden_block_count_z
      - .offset:         100
        .size:           2
        .value_kind:     hidden_group_size_x
      - .offset:         102
        .size:           2
        .value_kind:     hidden_group_size_y
      - .offset:         104
        .size:           2
        .value_kind:     hidden_group_size_z
      - .offset:         106
        .size:           2
        .value_kind:     hidden_remainder_x
      - .offset:         108
        .size:           2
        .value_kind:     hidden_remainder_y
      - .offset:         110
        .size:           2
        .value_kind:     hidden_remainder_z
      - .offset:         128
        .size:           8
        .value_kind:     hidden_global_offset_x
      - .offset:         136
        .size:           8
        .value_kind:     hidden_global_offset_y
      - .offset:         144
        .size:           8
        .value_kind:     hidden_global_offset_z
      - .offset:         152
        .size:           2
        .value_kind:     hidden_grid_dims
    .group_segment_fixed_size: 512
    .kernarg_segment_align: 8
    .kernarg_segment_size: 344
    .language:       OpenCL C
    .language_version:
      - 2
      - 0
    .max_flat_workgroup_size: 256
    .name:           _ZN4RAJA6policy3hip4impl18forallp_hip_kernelINS1_8hip_execINS_17iteration_mapping6DirectENS_3hip11IndexGlobalILNS_9named_dimE0ELi256ELi0EEENS7_40AvoidDeviceMaxThreadOccupancyConcretizerINS7_34FractionOffsetOccupancyConcretizerINS_8FractionImLm1ELm1EEELln1EEEEELb1EEENS_9Iterators16numeric_iteratorIllPlEEZN8rajaperf5lcals9FIRST_MIN26runHipVariantRAJANewReduceILm256ENSM_11gpu_mapping20global_direct_helperEEEvNSM_9VariantIDEEUllRNS_4expt5ValOpINST_6ValLocIdlEENS_9operators7minimumEEEE_lNST_15ForallParamPackIJNST_6detail7ReducerINSY_ISW_SW_SW_EESW_SZ_EEEEES6_SA_TnNSt9enable_ifIXaasr3std10is_base_ofINS5_10DirectBaseET4_EE5valuegtsrT5_10block_sizeLi0EEmE4typeELm256EEEvT1_T0_T2_T3_
    .private_segment_fixed_size: 0
    .sgpr_count:     22
    .sgpr_spill_count: 0
    .symbol:         _ZN4RAJA6policy3hip4impl18forallp_hip_kernelINS1_8hip_execINS_17iteration_mapping6DirectENS_3hip11IndexGlobalILNS_9named_dimE0ELi256ELi0EEENS7_40AvoidDeviceMaxThreadOccupancyConcretizerINS7_34FractionOffsetOccupancyConcretizerINS_8FractionImLm1ELm1EEELln1EEEEELb1EEENS_9Iterators16numeric_iteratorIllPlEEZN8rajaperf5lcals9FIRST_MIN26runHipVariantRAJANewReduceILm256ENSM_11gpu_mapping20global_direct_helperEEEvNSM_9VariantIDEEUllRNS_4expt5ValOpINST_6ValLocIdlEENS_9operators7minimumEEEE_lNST_15ForallParamPackIJNST_6detail7ReducerINSY_ISW_SW_SW_EESW_SZ_EEEEES6_SA_TnNSt9enable_ifIXaasr3std10is_base_ofINS5_10DirectBaseET4_EE5valuegtsrT5_10block_sizeLi0EEmE4typeELm256EEEvT1_T0_T2_T3_.kd
    .uniform_work_group_size: 1
    .uses_dynamic_stack: false
    .vgpr_count:     21
    .vgpr_spill_count: 0
    .wavefront_size: 32
    .workgroup_processor_mode: 1
  - .args:
      - .offset:         0
        .size:           88
        .value_kind:     by_value
      - .offset:         88
        .size:           8
        .value_kind:     by_value
      - .offset:         96
        .size:           8
        .value_kind:     by_value
      - .offset:         104
        .size:           1
        .value_kind:     by_value
      - .offset:         112
        .size:           4
        .value_kind:     hidden_block_count_x
      - .offset:         116
        .size:           4
        .value_kind:     hidden_block_count_y
      - .offset:         120
        .size:           4
        .value_kind:     hidden_block_count_z
      - .offset:         124
        .size:           2
        .value_kind:     hidden_group_size_x
      - .offset:         126
        .size:           2
        .value_kind:     hidden_group_size_y
      - .offset:         128
        .size:           2
        .value_kind:     hidden_group_size_z
      - .offset:         130
        .size:           2
        .value_kind:     hidden_remainder_x
      - .offset:         132
        .size:           2
        .value_kind:     hidden_remainder_y
      - .offset:         134
        .size:           2
        .value_kind:     hidden_remainder_z
      - .offset:         152
        .size:           8
        .value_kind:     hidden_global_offset_x
      - .offset:         160
        .size:           8
        .value_kind:     hidden_global_offset_y
      - .offset:         168
        .size:           8
        .value_kind:     hidden_global_offset_z
      - .offset:         176
        .size:           2
        .value_kind:     hidden_grid_dims
    .group_segment_fixed_size: 257
    .kernarg_segment_align: 8
    .kernarg_segment_size: 368
    .language:       OpenCL C
    .language_version:
      - 2
      - 0
    .max_flat_workgroup_size: 256
    .name:           _ZN4RAJA6policy3hip4impl18forallp_hip_kernelINS1_8hip_execINS_17iteration_mapping11StridedLoopILm0EEENS_3hip11IndexGlobalILNS_9named_dimE0ELi256ELi0EEENS8_40AvoidDeviceMaxThreadOccupancyConcretizerINS8_34FractionOffsetOccupancyConcretizerINS_8FractionImLm1ELm1EEELln1EEEEELb1EEENS_9Iterators16numeric_iteratorIllPlEEZN8rajaperf5lcals9FIRST_MIN17runHipVariantRAJAILm256ENSN_11gpu_mapping40global_loop_occupancy_grid_stride_helperEEEvNSN_9VariantIDEEUllE_lNS_4expt15ForallParamPackIJEEES7_SB_TnNSt9enable_ifIXaaaasr3std10is_base_ofINS5_15StridedLoopBaseET4_EE5valuesr3std10is_base_ofINS5_15UnsizedLoopBaseES10_EE5valuegtsrT5_10block_sizeLi0EEmE4typeELm256EEEvT1_T0_T2_T3_
    .private_segment_fixed_size: 0
    .sgpr_count:     30
    .sgpr_spill_count: 0
    .symbol:         _ZN4RAJA6policy3hip4impl18forallp_hip_kernelINS1_8hip_execINS_17iteration_mapping11StridedLoopILm0EEENS_3hip11IndexGlobalILNS_9named_dimE0ELi256ELi0EEENS8_40AvoidDeviceMaxThreadOccupancyConcretizerINS8_34FractionOffsetOccupancyConcretizerINS_8FractionImLm1ELm1EEELln1EEEEELb1EEENS_9Iterators16numeric_iteratorIllPlEEZN8rajaperf5lcals9FIRST_MIN17runHipVariantRAJAILm256ENSN_11gpu_mapping40global_loop_occupancy_grid_stride_helperEEEvNSN_9VariantIDEEUllE_lNS_4expt15ForallParamPackIJEEES7_SB_TnNSt9enable_ifIXaaaasr3std10is_base_ofINS5_15StridedLoopBaseET4_EE5valuesr3std10is_base_ofINS5_15UnsizedLoopBaseES10_EE5valuegtsrT5_10block_sizeLi0EEmE4typeELm256EEEvT1_T0_T2_T3_.kd
    .uniform_work_group_size: 1
    .uses_dynamic_stack: false
    .vgpr_count:     30
    .vgpr_spill_count: 0
    .wavefront_size: 32
    .workgroup_processor_mode: 1
  - .args:
      - .address_space:  global
        .offset:         0
        .size:           8
        .value_kind:     global_buffer
      - .offset:         8
        .size:           8
        .value_kind:     by_value
      - .offset:         16
        .size:           8
        .value_kind:     by_value
      - .offset:         24
        .size:           64
        .value_kind:     by_value
      - .offset:         88
        .size:           4
        .value_kind:     hidden_block_count_x
      - .offset:         92
        .size:           4
        .value_kind:     hidden_block_count_y
      - .offset:         96
        .size:           4
        .value_kind:     hidden_block_count_z
      - .offset:         100
        .size:           2
        .value_kind:     hidden_group_size_x
      - .offset:         102
        .size:           2
        .value_kind:     hidden_group_size_y
      - .offset:         104
        .size:           2
        .value_kind:     hidden_group_size_z
      - .offset:         106
        .size:           2
        .value_kind:     hidden_remainder_x
      - .offset:         108
        .size:           2
        .value_kind:     hidden_remainder_y
      - .offset:         110
        .size:           2
        .value_kind:     hidden_remainder_z
      - .offset:         128
        .size:           8
        .value_kind:     hidden_global_offset_x
      - .offset:         136
        .size:           8
        .value_kind:     hidden_global_offset_y
      - .offset:         144
        .size:           8
        .value_kind:     hidden_global_offset_z
      - .offset:         152
        .size:           2
        .value_kind:     hidden_grid_dims
    .group_segment_fixed_size: 512
    .kernarg_segment_align: 8
    .kernarg_segment_size: 344
    .language:       OpenCL C
    .language_version:
      - 2
      - 0
    .max_flat_workgroup_size: 256
    .name:           _ZN4RAJA6policy3hip4impl18forallp_hip_kernelINS1_8hip_execINS_17iteration_mapping11StridedLoopILm0EEENS_3hip11IndexGlobalILNS_9named_dimE0ELi256ELi0EEENS8_40AvoidDeviceMaxThreadOccupancyConcretizerINS8_34FractionOffsetOccupancyConcretizerINS_8FractionImLm1ELm1EEELln1EEEEELb1EEENS_9Iterators16numeric_iteratorIllPlEEZN8rajaperf5lcals9FIRST_MIN26runHipVariantRAJANewReduceILm256ENSN_11gpu_mapping40global_loop_occupancy_grid_stride_helperEEEvNSN_9VariantIDEEUllRNS_4expt5ValOpINSU_6ValLocIdlEENS_9operators7minimumEEEE_lNSU_15ForallParamPackIJNSU_6detail7ReducerINSZ_ISX_SX_SX_EESX_S10_EEEEES7_SB_TnNSt9enable_ifIXaaaasr3std10is_base_ofINS5_15StridedLoopBaseET4_EE5valuesr3std10is_base_ofINS5_15UnsizedLoopBaseES1B_EE5valuegtsrT5_10block_sizeLi0EEmE4typeELm256EEEvT1_T0_T2_T3_
    .private_segment_fixed_size: 0
    .sgpr_count:     22
    .sgpr_spill_count: 0
    .symbol:         _ZN4RAJA6policy3hip4impl18forallp_hip_kernelINS1_8hip_execINS_17iteration_mapping11StridedLoopILm0EEENS_3hip11IndexGlobalILNS_9named_dimE0ELi256ELi0EEENS8_40AvoidDeviceMaxThreadOccupancyConcretizerINS8_34FractionOffsetOccupancyConcretizerINS_8FractionImLm1ELm1EEELln1EEEEELb1EEENS_9Iterators16numeric_iteratorIllPlEEZN8rajaperf5lcals9FIRST_MIN26runHipVariantRAJANewReduceILm256ENSN_11gpu_mapping40global_loop_occupancy_grid_stride_helperEEEvNSN_9VariantIDEEUllRNS_4expt5ValOpINSU_6ValLocIdlEENS_9operators7minimumEEEE_lNSU_15ForallParamPackIJNSU_6detail7ReducerINSZ_ISX_SX_SX_EESX_S10_EEEEES7_SB_TnNSt9enable_ifIXaaaasr3std10is_base_ofINS5_15StridedLoopBaseET4_EE5valuesr3std10is_base_ofINS5_15UnsizedLoopBaseES1B_EE5valuegtsrT5_10block_sizeLi0EEmE4typeELm256EEEvT1_T0_T2_T3_.kd
    .uniform_work_group_size: 1
    .uses_dynamic_stack: false
    .vgpr_count:     21
    .vgpr_spill_count: 0
    .wavefront_size: 32
    .workgroup_processor_mode: 1
amdhsa.target:   amdgcn-amd-amdhsa--gfx1201
amdhsa.version:
  - 1
  - 2
...

	.end_amdgpu_metadata
